;; amdgpu-corpus repo=ROCm/rocFFT kind=compiled arch=gfx1201 opt=O3
	.text
	.amdgcn_target "amdgcn-amd-amdhsa--gfx1201"
	.amdhsa_code_object_version 6
	.protected	bluestein_single_fwd_len595_dim1_half_op_CI_CI ; -- Begin function bluestein_single_fwd_len595_dim1_half_op_CI_CI
	.globl	bluestein_single_fwd_len595_dim1_half_op_CI_CI
	.p2align	8
	.type	bluestein_single_fwd_len595_dim1_half_op_CI_CI,@function
bluestein_single_fwd_len595_dim1_half_op_CI_CI: ; @bluestein_single_fwd_len595_dim1_half_op_CI_CI
; %bb.0:
	s_load_b128 s[12:15], s[0:1], 0x28
	v_mul_u32_u24_e32 v1, 0xf10, v0
	s_mov_b32 s2, exec_lo
	s_delay_alu instid0(VALU_DEP_1) | instskip(NEXT) | instid1(VALU_DEP_1)
	v_lshrrev_b32_e32 v1, 16, v1
	v_mad_co_u64_u32 v[40:41], null, ttmp9, 3, v[1:2]
	v_mov_b32_e32 v41, 0
                                        ; kill: def $vgpr2 killed $sgpr0 killed $exec
	s_wait_kmcnt 0x0
	s_delay_alu instid0(VALU_DEP_1)
	v_cmpx_gt_u64_e64 s[12:13], v[40:41]
	s_cbranch_execz .LBB0_10
; %bb.1:
	s_clause 0x1
	s_load_b128 s[8:11], s[0:1], 0x0
	s_load_b128 s[4:7], s[0:1], 0x18
	v_mul_lo_u16 v1, v1, 17
                                        ; implicit-def: $vgpr108
                                        ; implicit-def: $vgpr109
                                        ; implicit-def: $vgpr110
                                        ; implicit-def: $vgpr111
                                        ; implicit-def: $vgpr112
                                        ; implicit-def: $vgpr124
                                        ; implicit-def: $vgpr125
                                        ; implicit-def: $vgpr207
                                        ; implicit-def: $vgpr208
	s_delay_alu instid0(VALU_DEP_1) | instskip(NEXT) | instid1(VALU_DEP_1)
	v_sub_nc_u16 v0, v0, v1
	v_and_b32_e32 v186, 0xffff, v0
	s_wait_kmcnt 0x0
	s_load_b128 s[16:19], s[4:5], 0x0
	s_movk_i32 s4, 0xf84c
	s_mov_b32 s5, -1
	s_wait_kmcnt 0x0
	v_mad_co_u64_u32 v[2:3], null, s18, v40, 0
	v_mad_co_u64_u32 v[4:5], null, s16, v186, 0
	s_mul_u64 s[2:3], s[16:17], 0x154
	s_mul_u64 s[4:5], s[16:17], s[4:5]
	s_mul_i32 s12, s17, 0xfffff9a0
	s_wait_alu 0xfffe
	s_sub_co_i32 s12, s12, s16
	s_delay_alu instid0(VALU_DEP_1) | instskip(NEXT) | instid1(VALU_DEP_1)
	v_mad_co_u64_u32 v[8:9], null, s19, v40, v[3:4]
	v_mov_b32_e32 v3, v8
	v_or_b32_e32 v11, 0x220, v186
	v_lshlrev_b32_e32 v1, 2, v186
	s_clause 0x13
	global_load_b32 v79, v1, s[8:9] offset:2108
	global_load_b32 v89, v1, s[8:9] offset:408
	;; [unrolled: 1-line block ×3, first 2 shown]
	global_load_b32 v105, v1, s[8:9]
	global_load_b32 v91, v1, s[8:9] offset:68
	global_load_b32 v77, v1, s[8:9] offset:136
	;; [unrolled: 1-line block ×16, first 2 shown]
	v_mad_co_u64_u32 v[6:7], null, s16, v11, 0
	v_lshlrev_b64_e32 v[2:3], 2, v[2:3]
	s_clause 0xa
	global_load_b32 v103, v1, s[8:9] offset:340
	global_load_b32 v48, v1, s[8:9] offset:272
	;; [unrolled: 1-line block ×11, first 2 shown]
	v_mad_co_u64_u32 v[9:10], null, s17, v186, v[5:6]
	v_mad_co_u64_u32 v[7:8], null, s17, v11, v[7:8]
	v_add_co_u32 v8, vcc_lo, s14, v2
	scratch_store_b32 off, v11, off offset:48 ; 4-byte Folded Spill
	global_load_b32 v181, v1, s[8:9] offset:1632
	v_mov_b32_e32 v5, v9
	v_add_co_ci_u32_e32 v9, vcc_lo, s15, v3, vcc_lo
	v_lshlrev_b64_e32 v[2:3], 2, v[6:7]
	s_clause 0x2
	global_load_b32 v64, v1, s[8:9] offset:2176
	global_load_b32 v50, v1, s[8:9] offset:2244
	;; [unrolled: 1-line block ×3, first 2 shown]
	v_lshlrev_b64_e32 v[4:5], 2, v[4:5]
	v_add_co_u32 v74, null, v186, 34
	s_delay_alu instid0(VALU_DEP_2) | instskip(SKIP_1) | instid1(VALU_DEP_3)
	v_add_co_u32 v4, vcc_lo, v8, v4
	s_wait_alu 0xfffd
	v_add_co_ci_u32_e32 v5, vcc_lo, v9, v5, vcc_lo
	v_add_co_u32 v2, vcc_lo, v8, v2
	s_wait_alu 0xfffd
	v_add_co_ci_u32_e32 v3, vcc_lo, v9, v3, vcc_lo
	s_clause 0x1
	global_load_b32 v6, v[4:5], off
	global_load_b32 v7, v[2:3], off
	v_add_co_u32 v4, vcc_lo, v4, s2
	s_wait_alu 0xfffd
	v_add_co_ci_u32_e32 v5, vcc_lo, s3, v5, vcc_lo
	s_delay_alu instid0(VALU_DEP_2) | instskip(SKIP_1) | instid1(VALU_DEP_2)
	v_add_co_u32 v2, vcc_lo, v4, s2
	s_wait_alu 0xfffd
	v_add_co_ci_u32_e32 v3, vcc_lo, s3, v5, vcc_lo
	s_clause 0x1
	global_load_b32 v8, v[4:5], off
	global_load_b32 v9, v[2:3], off
	v_add_co_u32 v2, vcc_lo, v2, s2
	s_wait_alu 0xfffd
	v_add_co_ci_u32_e32 v3, vcc_lo, s3, v3, vcc_lo
	s_delay_alu instid0(VALU_DEP_2) | instskip(SKIP_1) | instid1(VALU_DEP_2)
	;; [unrolled: 10-line block ×3, first 2 shown]
	v_add_co_u32 v4, vcc_lo, v2, s2
	s_wait_alu 0xfffd
	v_add_co_ci_u32_e32 v5, vcc_lo, s3, v3, vcc_lo
	global_load_b32 v12, v[2:3], off
	v_add_co_u32 v2, vcc_lo, v4, s4
	s_wait_alu 0xfffd
	v_add_co_ci_u32_e32 v3, vcc_lo, s5, v5, vcc_lo
	global_load_b32 v13, v[4:5], off
	;; [unrolled: 4-line block ×3, first 2 shown]
	global_load_b32 v15, v[4:5], off
	v_add_co_u32 v2, vcc_lo, v4, s2
	s_wait_alu 0xfffd
	v_add_co_ci_u32_e32 v3, vcc_lo, s3, v5, vcc_lo
	global_load_b32 v16, v[2:3], off
	v_add_co_u32 v2, vcc_lo, v2, s2
	s_wait_alu 0xfffd
	v_add_co_ci_u32_e32 v3, vcc_lo, s3, v3, vcc_lo
	s_delay_alu instid0(VALU_DEP_2) | instskip(SKIP_1) | instid1(VALU_DEP_2)
	v_add_co_u32 v4, vcc_lo, v2, s2
	s_wait_alu 0xfffd
	v_add_co_ci_u32_e32 v5, vcc_lo, s3, v3, vcc_lo
	global_load_b32 v17, v[2:3], off
	v_add_co_u32 v2, vcc_lo, v4, s2
	s_wait_alu 0xfffd
	v_add_co_ci_u32_e32 v3, vcc_lo, s3, v5, vcc_lo
	global_load_b32 v18, v[4:5], off
	global_load_b32 v19, v[2:3], off
	v_add_co_u32 v2, vcc_lo, v2, s2
	s_wait_alu 0xfffd
	v_add_co_ci_u32_e32 v3, vcc_lo, s3, v3, vcc_lo
	s_delay_alu instid0(VALU_DEP_2) | instskip(SKIP_1) | instid1(VALU_DEP_2)
	v_add_co_u32 v4, vcc_lo, v2, s4
	s_wait_alu 0xfffd
	v_add_co_ci_u32_e32 v5, vcc_lo, s5, v3, vcc_lo
	global_load_b32 v20, v[2:3], off
	v_add_co_u32 v2, vcc_lo, v4, s2
	s_wait_alu 0xfffd
	v_add_co_ci_u32_e32 v3, vcc_lo, s3, v5, vcc_lo
	global_load_b32 v21, v[4:5], off
	;; [unrolled: 4-line block ×3, first 2 shown]
	global_load_b32 v23, v[4:5], off
	v_add_co_u32 v2, vcc_lo, v4, s2
	s_wait_alu 0xfffd
	v_add_co_ci_u32_e32 v3, vcc_lo, s3, v5, vcc_lo
	s_delay_alu instid0(VALU_DEP_2) | instskip(SKIP_1) | instid1(VALU_DEP_2)
	v_add_co_u32 v4, vcc_lo, v2, s2
	s_wait_alu 0xfffd
	v_add_co_ci_u32_e32 v5, vcc_lo, s3, v3, vcc_lo
	global_load_b32 v24, v[2:3], off
	v_add_co_u32 v2, vcc_lo, v4, s2
	s_wait_alu 0xfffd
	v_add_co_ci_u32_e32 v3, vcc_lo, s3, v5, vcc_lo
	global_load_b32 v25, v[4:5], off
	v_mad_co_u64_u32 v[4:5], null, 0xfffff9a0, s16, v[2:3]
	global_load_b32 v26, v[2:3], off
	s_wait_alu 0xfffe
	v_add_nc_u32_e32 v5, s12, v5
	v_add_co_u32 v2, vcc_lo, v4, s2
	s_wait_alu 0xfffd
	s_delay_alu instid0(VALU_DEP_2)
	v_add_co_ci_u32_e32 v3, vcc_lo, s3, v5, vcc_lo
	global_load_b32 v27, v[4:5], off
	v_add_co_u32 v4, vcc_lo, v2, s2
	s_wait_alu 0xfffd
	v_add_co_ci_u32_e32 v5, vcc_lo, s3, v3, vcc_lo
	global_load_b32 v28, v[2:3], off
	global_load_b32 v29, v[4:5], off
	v_add_co_u32 v2, vcc_lo, v4, s2
	s_wait_alu 0xfffd
	v_add_co_ci_u32_e32 v3, vcc_lo, s3, v5, vcc_lo
	s_delay_alu instid0(VALU_DEP_2) | instskip(SKIP_1) | instid1(VALU_DEP_2)
	v_add_co_u32 v4, vcc_lo, v2, s2
	s_wait_alu 0xfffd
	v_add_co_ci_u32_e32 v5, vcc_lo, s3, v3, vcc_lo
	global_load_b32 v30, v[2:3], off
	v_add_co_u32 v2, vcc_lo, v4, s2
	s_wait_alu 0xfffd
	v_add_co_ci_u32_e32 v3, vcc_lo, s3, v5, vcc_lo
	global_load_b32 v31, v[4:5], off
	global_load_b32 v32, v[2:3], off
	v_add_co_u32 v2, vcc_lo, v2, s2
	s_wait_alu 0xfffd
	v_add_co_ci_u32_e32 v3, vcc_lo, s3, v3, vcc_lo
	s_delay_alu instid0(VALU_DEP_2) | instskip(SKIP_1) | instid1(VALU_DEP_2)
	v_add_co_u32 v4, vcc_lo, v2, s4
	s_wait_alu 0xfffd
	v_add_co_ci_u32_e32 v5, vcc_lo, s5, v3, vcc_lo
	global_load_b32 v33, v[2:3], off
	v_add_co_u32 v2, vcc_lo, v4, s2
	s_wait_alu 0xfffd
	v_add_co_ci_u32_e32 v3, vcc_lo, s3, v5, vcc_lo
	global_load_b32 v34, v[4:5], off
	;; [unrolled: 4-line block ×3, first 2 shown]
	global_load_b32 v36, v[4:5], off
	v_add_co_u32 v2, vcc_lo, v4, s2
	s_wait_alu 0xfffd
	v_add_co_ci_u32_e32 v3, vcc_lo, s3, v5, vcc_lo
	s_delay_alu instid0(VALU_DEP_2) | instskip(SKIP_1) | instid1(VALU_DEP_2)
	v_add_co_u32 v4, vcc_lo, v2, s2
	s_wait_alu 0xfffd
	v_add_co_ci_u32_e32 v5, vcc_lo, s3, v3, vcc_lo
	global_load_b32 v37, v[2:3], off
	v_add_co_u32 v2, vcc_lo, v4, s2
	s_wait_alu 0xfffd
	v_add_co_ci_u32_e32 v3, vcc_lo, s3, v5, vcc_lo
	global_load_b32 v38, v[4:5], off
	;; [unrolled: 4-line block ×3, first 2 shown]
	global_load_b32 v4, v[4:5], off
	v_mul_hi_u32 v2, 0xaaaaaaab, v40
	s_load_b128 s[4:7], s[6:7], 0x0
	s_load_b64 s[2:3], s[0:1], 0x38
	v_add_co_u32 v72, s0, v186, 17
	v_cmp_eq_u16_e32 vcc_lo, 0, v0
	s_delay_alu instid0(VALU_DEP_3) | instskip(NEXT) | instid1(VALU_DEP_1)
	v_lshrrev_b32_e32 v2, 1, v2
	v_lshl_add_u32 v2, v2, 1, v2
	s_delay_alu instid0(VALU_DEP_1) | instskip(NEXT) | instid1(VALU_DEP_1)
	v_sub_nc_u32_e32 v2, v40, v2
	v_mul_u32_u24_e32 v2, 0x253, v2
	s_delay_alu instid0(VALU_DEP_1) | instskip(SKIP_3) | instid1(VALU_DEP_3)
	v_dual_mov_b32 v3, v40 :: v_dual_lshlrev_b32 v200, 2, v2
	s_wait_alu 0xf1ff
	v_add_co_ci_u32_e64 v2, null, 0, 0, s0
	v_mul_lo_u16 v40, v0, 7
	v_add_nc_u32_e32 v130, v1, v200
	s_delay_alu instid0(VALU_DEP_1)
	v_add_nc_u32_e32 v2, 0x800, v130
	v_add_nc_u32_e32 v41, 0x600, v130
	s_wait_loadcnt 0x3e
	v_lshrrev_b32_e32 v84, 16, v79
	v_lshrrev_b32_e32 v93, 16, v89
	;; [unrolled: 1-line block ×8, first 2 shown]
	s_wait_loadcnt 0x3d
	v_lshrrev_b32_e32 v92, 16, v87
	s_wait_loadcnt 0x3c
	v_lshrrev_b32_e32 v78, 16, v70
	;; [unrolled: 2-line block ×11, first 2 shown]
	s_clause 0x2
	scratch_store_b32 off, v95, off offset:184
	scratch_store_b32 off, v91, off offset:168
	scratch_store_b32 off, v93, off offset:176
	s_wait_loadcnt 0x31
	v_lshrrev_b32_e32 v107, 16, v103
	s_wait_loadcnt 0x2f
	v_lshrrev_b32_e32 v104, 16, v100
	;; [unrolled: 2-line block ×6, first 2 shown]
	s_clause 0x9
	scratch_store_b32 off, v104, off offset:220
	scratch_store_b32 off, v98, off offset:196
	scratch_store_b32 off, v100, off offset:204
	scratch_store_b32 off, v101, off offset:208
	scratch_store_b32 off, v103, off offset:216
	scratch_store_b32 off, v105, off offset:224
	scratch_store_b32 off, v102, off offset:212
	scratch_store_b32 off, v99, off offset:200
	scratch_store_b32 off, v97, off offset:192
	scratch_store_b32 off, v94, off offset:180
	s_wait_loadcnt 0x25
	v_lshrrev_b32_e32 v47, 16, v64
	s_clause 0x1
	scratch_store_b32 off, v64, off offset:68
	scratch_store_b32 off, v96, off offset:188
	v_lshrrev_b32_e32 v56, 16, v51
	s_wait_loadcnt 0x24
	v_lshrrev_b32_e32 v54, 16, v50
	scratch_store_b32 off, v47, off offset:84 ; 4-byte Folded Spill
	v_lshrrev_b32_e32 v52, 16, v48
	v_lshrrev_b32_e32 v49, 16, v194
	v_lshrrev_b32_e32 v196, 16, v191
	v_lshrrev_b32_e32 v193, 16, v187
	v_lshrrev_b32_e32 v189, 16, v181
	v_lshrrev_b32_e32 v184, 16, v177
	s_wait_loadcnt 0x23
	v_lshrrev_b32_e32 v179, 16, v175
	s_clause 0x2
	scratch_store_b32 off, v45, off offset:236
	scratch_store_b32 off, v107, off offset:232
	;; [unrolled: 1-line block ×3, first 2 shown]
	s_wait_loadcnt 0x22
	v_lshrrev_b32_e32 v5, 16, v6
	v_mul_f16_e32 v42, v45, v6
	s_wait_loadcnt 0x21
	v_lshrrev_b32_e32 v43, 16, v7
	v_mul_f16_e32 v44, v47, v7
	v_mul_f16_e32 v45, v45, v5
	v_fma_f16 v5, v105, v5, -v42
	s_delay_alu instid0(VALU_DEP_4) | instskip(NEXT) | instid1(VALU_DEP_4)
	v_mul_f16_e32 v47, v47, v43
	v_fma_f16 v43, v64, v43, -v44
	s_delay_alu instid0(VALU_DEP_4) | instskip(NEXT) | instid1(VALU_DEP_3)
	v_fmac_f16_e32 v45, v105, v6
	v_fmac_f16_e32 v47, v64, v7
	s_wait_loadcnt 0x20
	v_lshrrev_b32_e32 v42, 16, v8
	v_mul_f16_e32 v46, v107, v8
	s_wait_loadcnt 0x1f
	v_lshrrev_b32_e32 v44, 16, v9
	v_pack_b32_f16 v5, v45, v5
	v_pack_b32_f16 v43, v47, v43
	v_mul_f16_e32 v6, v107, v42
	v_fma_f16 v42, v103, v42, -v46
	v_mul_f16_e32 v46, v106, v9
	v_mul_f16_e32 v7, v106, v44
	v_add_co_u32 v107, null, v186, 51
	v_fmac_f16_e32 v6, v103, v8
	s_delay_alu instid0(VALU_DEP_4)
	v_fma_f16 v8, v102, v44, -v46
	s_wait_loadcnt 0x1e
	v_lshrrev_b32_e32 v44, 16, v10
	v_mul_f16_e32 v45, v104, v10
	v_fmac_f16_e32 v7, v102, v9
	v_pack_b32_f16 v6, v6, v42
	s_wait_loadcnt 0x1d
	v_lshrrev_b32_e32 v42, 16, v11
	v_mul_f16_e32 v9, v104, v44
	v_fma_f16 v44, v100, v44, -v45
	v_mul_f16_e32 v45, v101, v11
	v_pack_b32_f16 v7, v7, v8
	v_mul_f16_e32 v8, v101, v42
	v_fmac_f16_e32 v9, v100, v10
	s_wait_loadcnt 0x1c
	v_lshrrev_b32_e32 v10, 16, v12
	v_fma_f16 v42, v98, v42, -v45
	v_mul_f16_e32 v45, v99, v12
                                        ; implicit-def: $vgpr100
                                        ; implicit-def: $vgpr101
	v_fmac_f16_e32 v8, v98, v11
	v_pack_b32_f16 v9, v9, v44
	v_mul_f16_e32 v11, v99, v10
	s_wait_loadcnt 0x1b
	v_lshrrev_b32_e32 v44, 16, v13
	v_fma_f16 v10, v96, v10, -v45
	v_mul_f16_e32 v45, v97, v13
                                        ; implicit-def: $vgpr98
                                        ; implicit-def: $vgpr99
	v_pack_b32_f16 v8, v8, v42
	v_fmac_f16_e32 v11, v96, v12
	v_mul_f16_e32 v12, v97, v44
	s_wait_loadcnt 0x1a
	v_lshrrev_b32_e32 v42, 16, v14
	v_fma_f16 v44, v94, v44, -v45
	v_mul_f16_e32 v45, v95, v14
	s_wait_loadcnt 0x19
	v_mul_f16_e32 v46, v93, v15
                                        ; implicit-def: $vgpr97
                                        ; implicit-def: $vgpr96
	v_pack_b32_f16 v10, v11, v10
	v_fmac_f16_e32 v12, v94, v13
	v_mul_f16_e32 v11, v95, v42
	v_fma_f16 v42, v91, v42, -v45
	v_lshrrev_b32_e32 v13, 16, v15
	s_wait_loadcnt 0x18
	v_mul_f16_e32 v45, v92, v16
                                        ; implicit-def: $vgpr95
	v_pack_b32_f16 v12, v12, v44
	v_fmac_f16_e32 v11, v91, v14
	v_lshrrev_b32_e32 v44, 16, v16
	v_mul_f16_e32 v14, v93, v13
	v_fma_f16 v13, v89, v13, -v46
	v_add_co_u32 v93, s0, s8, v1
                                        ; kill: def $vgpr0 killed $sgpr0 killed $exec
                                        ; implicit-def: $vgpr1
	s_wait_alu 0xf1ff
	v_add_co_ci_u32_e64 v94, null, s9, 0, s0
	v_fmac_f16_e32 v14, v89, v15
	s_wait_loadcnt 0x12
	v_lshrrev_b32_e32 v15, 16, v22
	s_wait_loadcnt 0x0
	scratch_store_b64 off, v[3:4], off offset:240 ; 8-byte Folded Spill
	ds_store_b32 v130, v6 offset:340
	ds_store_b32 v130, v7 offset:680
	;; [unrolled: 1-line block ×6, first 2 shown]
	v_pack_b32_f16 v6, v11, v42
	v_mul_f16_e32 v7, v92, v44
	v_lshrrev_b32_e32 v9, 16, v17
	v_fma_f16 v8, v87, v44, -v45
	v_mul_f16_e32 v10, v90, v17
	v_lshrrev_b32_e32 v11, 16, v18
	v_lshrrev_b32_e32 v12, 16, v19
	v_add_nc_u32_e32 v3, 0x400, v130
	s_clause 0x17
	scratch_store_b32 off, v90, off offset:164
	scratch_store_b32 off, v85, off offset:144
	;; [unrolled: 1-line block ×24, first 2 shown]
	ds_store_2addr_b32 v130, v5, v6 offset1:17
	v_fmac_f16_e32 v7, v87, v16
	v_mul_f16_e32 v6, v90, v9
	v_fma_f16 v9, v85, v9, -v10
	v_mul_f16_e32 v10, v88, v18
	v_pack_b32_f16 v5, v14, v13
	v_pack_b32_f16 v7, v7, v8
	v_fmac_f16_e32 v6, v85, v17
	v_mul_f16_e32 v8, v88, v11
	v_fma_f16 v10, v83, v11, -v10
	v_mul_f16_e32 v11, v86, v19
	v_lshrrev_b32_e32 v13, 16, v20
	v_pack_b32_f16 v6, v6, v9
	v_fmac_f16_e32 v8, v83, v18
	v_mul_f16_e32 v9, v86, v12
	v_fma_f16 v11, v81, v12, -v11
	v_mul_f16_e32 v12, v84, v20
	v_lshrrev_b32_e32 v14, 16, v21
	v_pack_b32_f16 v8, v8, v10
	v_fmac_f16_e32 v9, v81, v19
	v_mul_f16_e32 v10, v84, v13
	v_fma_f16 v12, v79, v13, -v12
	v_mul_f16_e32 v13, v82, v21
	v_lshrrev_b32_e32 v16, 16, v23
	v_pack_b32_f16 v9, v9, v11
	v_fmac_f16_e32 v10, v79, v20
	v_mul_f16_e32 v11, v82, v14
	v_fma_f16 v13, v77, v14, -v13
	v_mul_f16_e32 v14, v80, v22
	v_mul_f16_e32 v17, v78, v23
	v_pack_b32_f16 v10, v10, v12
	v_fmac_f16_e32 v11, v77, v21
	v_mul_f16_e32 v12, v80, v15
	v_fma_f16 v14, v73, v15, -v14
	v_fma_f16 v15, v70, v16, -v17
	v_mul_f16_e32 v17, v75, v24
	v_pack_b32_f16 v11, v11, v13
	v_fmac_f16_e32 v12, v73, v22
	v_mul_f16_e32 v13, v78, v16
	v_lshrrev_b32_e32 v16, 16, v24
	ds_store_2addr_b32 v2, v10, v43 offset0:15 offset1:32
	v_lshrrev_b32_e32 v18, 16, v4
	v_pack_b32_f16 v10, v12, v14
	v_fmac_f16_e32 v13, v70, v23
	v_lshrrev_b32_e32 v14, 16, v25
	v_mul_f16_e32 v12, v75, v16
	v_fma_f16 v16, v68, v16, -v17
	v_mul_f16_e32 v17, v71, v25
	ds_store_2addr_b32 v130, v5, v10 offset0:102 offset1:119
	v_pack_b32_f16 v5, v13, v15
	v_mul_f16_e32 v10, v71, v14
	v_lshrrev_b32_e32 v13, 16, v26
	v_fmac_f16_e32 v12, v68, v24
	v_fma_f16 v14, v67, v14, -v17
	v_mul_f16_e32 v15, v69, v26
	v_fmac_f16_e32 v10, v67, v25
	v_mul_f16_e32 v17, v69, v13
	ds_store_2addr_b32 v130, v7, v5 offset0:187 offset1:204
	v_pack_b32_f16 v5, v12, v16
	v_fma_f16 v7, v65, v13, -v15
	v_pack_b32_f16 v10, v10, v14
	v_fmac_f16_e32 v17, v65, v26
	v_lshrrev_b32_e32 v12, 16, v27
	ds_store_2addr_b32 v3, v6, v5 offset0:16 offset1:33
	v_mul_f16_e32 v5, v66, v27
	ds_store_2addr_b32 v3, v8, v10 offset0:101 offset1:118
	v_pack_b32_f16 v6, v17, v7
	v_mul_f16_e32 v7, v66, v12
	v_lshrrev_b32_e32 v8, 16, v28
	v_fma_f16 v5, v61, v12, -v5
	v_mul_f16_e32 v10, v63, v28
	ds_store_2addr_b32 v3, v9, v6 offset0:186 offset1:203
	v_fmac_f16_e32 v7, v61, v27
	v_mul_f16_e32 v6, v63, v8
	v_lshrrev_b32_e32 v9, 16, v29
	v_mul_f16_e32 v12, v62, v29
	v_fma_f16 v8, v59, v8, -v10
	v_pack_b32_f16 v5, v7, v5
	v_fmac_f16_e32 v6, v59, v28
	v_mul_f16_e32 v7, v62, v9
	v_lshrrev_b32_e32 v10, 16, v30
	v_fma_f16 v9, v57, v9, -v12
	v_mul_f16_e32 v12, v60, v30
	ds_store_2addr_b32 v130, v11, v5 offset0:34 offset1:51
	v_pack_b32_f16 v5, v6, v8
	v_fmac_f16_e32 v7, v57, v29
	v_mul_f16_e32 v6, v60, v10
	v_lshrrev_b32_e32 v8, 16, v31
	v_fma_f16 v10, v55, v10, -v12
	v_mul_f16_e32 v11, v58, v31
	v_pack_b32_f16 v7, v7, v9
	v_fmac_f16_e32 v6, v55, v30
	v_mul_f16_e32 v9, v58, v8
	v_lshrrev_b32_e32 v12, 16, v32
	v_fma_f16 v8, v53, v8, -v11
	v_mul_f16_e32 v11, v56, v32
	;; [unrolled: 6-line block ×5, first 2 shown]
	v_pack_b32_f16 v9, v9, v12
	v_fmac_f16_e32 v11, v48, v34
	v_mul_f16_e32 v12, v49, v15
	v_lshrrev_b32_e32 v16, 16, v36
	v_mul_f16_e64 v17, v196, v36
	v_fma_f16 v14, v194, v15, -v14
	v_pack_b32_f16 v11, v11, v13
	v_fmac_f16_e64 v12, v194, v35
	v_mul_f16_e64 v13, v196, v16
	v_fma_f16 v15, v191, v16, -v17
	v_lshrrev_b32_e32 v16, 16, v37
	v_mul_f16_e64 v17, v193, v37
	ds_store_b32 v130, v11 offset:272
	v_pack_b32_f16 v11, v12, v14
	v_mul_f16_e64 v20, v179, v4
	v_mul_f16_e64 v12, v193, v16
	v_fma_f16 v14, v187, v16, -v17
	v_lshrrev_b32_e32 v16, 16, v38
	v_mul_f16_e64 v17, v189, v38
	ds_store_2addr_b32 v130, v5, v11 offset0:136 offset1:153
	v_lshrrev_b32_e32 v5, 16, v39
	v_mul_f16_e64 v21, v179, v18
	v_mul_f16_e64 v11, v189, v16
	v_fma_f16 v16, v181, v16, -v17
	v_mul_f16_e64 v17, v184, v39
	v_mul_f16_e64 v19, v184, v5
	v_fmac_f16_e64 v13, v191, v36
	v_fmac_f16_e64 v12, v187, v37
	;; [unrolled: 1-line block ×3, first 2 shown]
	v_fma_f16 v5, v177, v5, -v17
	v_fmac_f16_e64 v19, v177, v39
	v_fma_f16 v17, v175, v18, -v20
	v_fmac_f16_e64 v21, v175, v4
	v_pack_b32_f16 v4, v13, v15
	v_pack_b32_f16 v12, v12, v14
	;; [unrolled: 1-line block ×5, first 2 shown]
	s_clause 0xf
	scratch_store_b32 off, v62, off offset:60
	scratch_store_b32 off, v57, off offset:36
	scratch_store_b32 off, v58, off offset:40
	scratch_store_b32 off, v59, off offset:44
	scratch_store_b32 off, v60, off offset:52
	scratch_store_b32 off, v61, off offset:56
	scratch_store_b32 off, v63, off offset:64
	scratch_store_b32 off, v56, off offset:32
	scratch_store_b32 off, v54, off offset:24
	scratch_store_b32 off, v52, off offset:16
	scratch_store_b32 off, v48, off
	scratch_store_b32 off, v49, off offset:4
	scratch_store_b32 off, v51, off offset:12
	;; [unrolled: 1-line block ×5, first 2 shown]
	ds_store_2addr_b32 v130, v7, v4 offset0:221 offset1:238
	ds_store_2addr_b32 v3, v6, v12 offset0:50 offset1:67
	;; [unrolled: 1-line block ×5, first 2 shown]
	global_wb scope:SCOPE_SE
	s_wait_storecnt_dscnt 0x0
	s_wait_kmcnt 0x0
	s_barrier_signal -1
	s_barrier_wait -1
	global_inv scope:SCOPE_SE
	ds_load_2addr_b32 v[4:5], v130 offset0:102 offset1:119
	ds_load_2addr_b32 v[6:7], v130 offset0:170 offset1:187
	;; [unrolled: 1-line block ×9, first 2 shown]
	v_and_b32_e32 v28, 0xffff, v40
	v_mul_u32_u24_e32 v29, 7, v72
	v_mul_u32_u24_e32 v30, 7, v74
	ds_load_2addr_b32 v[22:23], v130 offset0:136 offset1:153
	ds_load_2addr_b32 v[24:25], v3 offset0:220 offset1:237
	;; [unrolled: 1-line block ×3, first 2 shown]
	v_mul_u32_u24_e32 v45, 7, v107
	v_lshl_add_u32 v106, v28, 2, v200
	v_lshl_add_u32 v104, v29, 2, v200
	;; [unrolled: 1-line block ×3, first 2 shown]
	ds_load_2addr_b32 v[28:29], v130 offset1:17
	ds_load_2addr_b32 v[30:31], v130 offset0:34 offset1:51
	v_lshl_add_u32 v105, v45, 2, v200
	v_add_co_u32 v75, null, 0x44, v186
                                        ; implicit-def: $vgpr54
                                        ; implicit-def: $vgpr52
                                        ; implicit-def: $vgpr57
	s_wait_dscnt 0xa
	v_pk_add_f16 v34, v8, v11
	s_wait_dscnt 0x9
	v_pk_add_f16 v32, v4, v13
	;; [unrolled: 2-line block ×3, first 2 shown]
	v_pk_add_f16 v4, v4, v13 neg_lo:[0,1] neg_hi:[0,1]
	v_pk_add_f16 v7, v7, v14 neg_lo:[0,1] neg_hi:[0,1]
	;; [unrolled: 1-line block ×3, first 2 shown]
	s_wait_dscnt 0x7
	v_pk_add_f16 v11, v5, v16
	s_wait_dscnt 0x6
	v_pk_add_f16 v13, v18, v15
	;; [unrolled: 2-line block ×3, first 2 shown]
	v_pk_add_f16 v5, v5, v16 neg_lo:[0,1] neg_hi:[0,1]
	v_pk_add_f16 v15, v18, v15 neg_lo:[0,1] neg_hi:[0,1]
	v_pk_add_f16 v35, v33, v32
	v_pk_add_f16 v36, v33, v32 neg_lo:[0,1] neg_hi:[0,1]
	v_pk_add_f16 v37, v8, v7
	v_pk_add_f16 v38, v4, v8 neg_lo:[0,1] neg_hi:[0,1]
	v_pk_add_f16 v39, v7, v4 neg_lo:[0,1] neg_hi:[0,1]
	;; [unrolled: 1-line block ×3, first 2 shown]
	v_pk_add_f16 v8, v13, v11
	v_pk_add_f16 v9, v20, v9 neg_lo:[0,1] neg_hi:[0,1]
	v_pk_add_f16 v32, v32, v34 neg_lo:[0,1] neg_hi:[0,1]
	;; [unrolled: 1-line block ×6, first 2 shown]
	v_pk_add_f16 v34, v34, v35
	v_pk_add_f16 v4, v37, v4
	v_pk_mul_f16 v35, 0x39e0, v36 op_sel_hi:[0,1]
	v_pk_mul_f16 v36, 0x3574, v38 op_sel_hi:[0,1]
	;; [unrolled: 1-line block ×3, first 2 shown]
	v_pk_add_f16 v8, v14, v8
	v_pk_add_f16 v41, v9, v15
	v_pk_add_f16 v42, v5, v9 neg_lo:[0,1] neg_hi:[0,1]
	v_pk_add_f16 v13, v14, v13 neg_lo:[0,1] neg_hi:[0,1]
	v_pk_mul_f16 v32, 0x3a52, v32 op_sel_hi:[0,1]
	v_pk_mul_f16 v11, 0x3a52, v11 op_sel_hi:[0,1]
	;; [unrolled: 1-line block ×4, first 2 shown]
	s_wait_dscnt 0x1
	v_pk_add_f16 v29, v29, v34
	v_pk_fma_f16 v38, 0x3574, v38, v37 op_sel_hi:[0,1,1] neg_lo:[0,1,1] neg_hi:[0,1,1]
	v_pk_fma_f16 v37, 0xb846, v7, v37 op_sel_hi:[0,1,1] neg_lo:[0,1,0] neg_hi:[0,1,0]
	v_pk_fma_f16 v7, 0xb846, v7, v36 op_sel_hi:[0,1,1]
	s_wait_dscnt 0x0
	v_pk_add_f16 v30, v30, v8
	v_pk_add_f16 v9, v9, v15 neg_lo:[0,1] neg_hi:[0,1]
	v_pk_add_f16 v5, v41, v5
	v_pk_add_f16 v41, v32, v35 op_sel:[1,1] op_sel_hi:[0,0] neg_lo:[1,1] neg_hi:[1,1]
	v_pk_fma_f16 v35, 0x2b26, v33, v35 op_sel_hi:[0,1,1] neg_lo:[0,1,0] neg_hi:[0,1,0]
	v_pk_fma_f16 v32, 0x2b26, v33, v32 op_sel_hi:[0,1,1]
	v_pk_add_f16 v33, v11, v14 op_sel:[1,1] op_sel_hi:[0,0] neg_lo:[1,1] neg_hi:[1,1]
	v_pk_fma_f16 v36, 0x3574, v42, v40 op_sel_hi:[0,1,1] neg_lo:[0,1,1] neg_hi:[0,1,1]
	v_pk_fma_f16 v14, 0x2b26, v13, v14 op_sel_hi:[0,1,1] neg_lo:[0,1,0] neg_hi:[0,1,0]
	v_pk_fma_f16 v11, 0x2b26, v13, v11 op_sel_hi:[0,1,1]
	v_pk_fma_f16 v13, 0x3cab, v34, v29 op_sel_hi:[0,1,1] neg_lo:[0,1,0] neg_hi:[0,1,0]
	v_pk_fma_f16 v34, 0x370e, v4, v38 op_sel_hi:[0,1,1]
	v_pk_fma_f16 v37, 0x370e, v4, v37 op_sel_hi:[0,1,1]
	;; [unrolled: 1-line block ×3, first 2 shown]
	v_pk_fma_f16 v7, 0x3cab, v8, v30 op_sel_hi:[0,1,1] neg_lo:[0,1,0] neg_hi:[0,1,0]
	v_pk_mul_f16 v39, 0x3574, v42 op_sel_hi:[0,1]
	v_pk_fma_f16 v40, 0xb846, v9, v40 op_sel_hi:[0,1,1] neg_lo:[0,1,0] neg_hi:[0,1,0]
	v_pk_fma_f16 v8, 0x370e, v5, v36 op_sel_hi:[0,1,1]
	v_pk_add_f16 v38, v41, v13 op_sel:[0,1] op_sel_hi:[1,0]
	v_pk_add_f16 v35, v35, v13
	v_pk_add_f16 v13, v32, v13
	v_pk_add_f16 v32, v33, v7 op_sel:[0,1] op_sel_hi:[1,0]
	v_pk_add_f16 v16, v22, v17
	v_pk_add_f16 v18, v19, v24
	v_pk_fma_f16 v9, 0xb846, v9, v39 op_sel_hi:[0,1,1]
	v_pk_fma_f16 v36, 0x370e, v5, v40 op_sel_hi:[0,1,1]
	v_pk_add_f16 v14, v14, v7
	v_pk_add_f16 v7, v11, v7
	;; [unrolled: 1-line block ×3, first 2 shown]
	v_pk_add_f16 v33, v38, v34 neg_lo:[0,1] neg_hi:[0,1]
	v_pk_add_f16 v34, v35, v37 op_sel:[0,1] op_sel_hi:[1,0] neg_lo:[0,1] neg_hi:[0,1]
	v_pk_add_f16 v35, v35, v37 op_sel:[0,1] op_sel_hi:[1,0]
	v_pk_add_f16 v37, v13, v4 op_sel:[0,1] op_sel_hi:[1,0]
	v_pk_add_f16 v38, v13, v4 op_sel:[0,1] op_sel_hi:[1,0] neg_lo:[0,1] neg_hi:[0,1]
	v_pk_add_f16 v4, v32, v8
	v_pk_add_f16 v8, v32, v8 neg_lo:[0,1] neg_hi:[0,1]
	v_pk_add_f16 v20, v26, v21
	v_pk_add_f16 v15, v18, v16
	v_pk_add_f16 v13, v14, v36 op_sel:[0,1] op_sel_hi:[1,0] neg_lo:[0,1] neg_hi:[0,1]
	v_pk_add_f16 v14, v14, v36 op_sel:[0,1] op_sel_hi:[1,0]
	v_bfi_b32 v36, 0xffff, v34, v35
	v_bfi_b32 v34, 0xffff, v35, v34
	v_alignbit_b32 v35, v8, v4, 16
	v_alignbit_b32 v41, v4, v8, 16
	v_pk_fma_f16 v5, 0x370e, v5, v9 op_sel_hi:[0,1,1]
	v_pk_add_f16 v8, v22, v17 neg_lo:[0,1] neg_hi:[0,1]
	v_pk_add_f16 v9, v19, v24 neg_lo:[0,1] neg_hi:[0,1]
	v_bfi_b32 v39, 0xffff, v13, v14
	v_bfi_b32 v40, 0xffff, v14, v13
	v_pk_add_f16 v4, v20, v15
	v_pk_add_f16 v13, v21, v26 neg_lo:[0,1] neg_hi:[0,1]
	v_pk_add_f16 v14, v16, v20 neg_lo:[0,1] neg_hi:[0,1]
	v_pk_add_f16 v16, v18, v16 neg_lo:[0,1] neg_hi:[0,1]
	v_pk_add_f16 v17, v9, v8 neg_lo:[0,1] neg_hi:[0,1]
	v_pk_add_f16 v15, v31, v4
	v_pk_add_f16 v19, v13, v9
	v_pk_add_f16 v21, v8, v13 neg_lo:[0,1] neg_hi:[0,1]
	v_pk_mul_f16 v22, 0x3a52, v14 op_sel_hi:[0,1]
	v_pk_mul_f16 v14, 0x39e0, v16 op_sel_hi:[0,1]
	;; [unrolled: 1-line block ×3, first 2 shown]
	v_pk_add_f16 v19, v19, v8
	v_pk_fma_f16 v24, 0x3cab, v4, v15 op_sel_hi:[0,1,1] neg_lo:[0,1,0] neg_hi:[0,1,0]
	v_pk_add_f16 v18, v20, v18 neg_lo:[0,1] neg_hi:[0,1]
	v_pk_add_f16 v4, v22, v14 op_sel:[1,1] op_sel_hi:[0,0] neg_lo:[1,1] neg_hi:[1,1]
	v_pk_fma_f16 v8, 0x3574, v21, v16 op_sel_hi:[0,1,1] neg_lo:[0,1,1] neg_hi:[0,1,1]
	v_pk_add_f16 v17, v7, v5 op_sel:[0,1] op_sel_hi:[1,0]
	v_pk_add_f16 v9, v13, v9 neg_lo:[0,1] neg_hi:[0,1]
	v_pk_add_f16 v20, v7, v5 op_sel:[0,1] op_sel_hi:[1,0] neg_lo:[0,1] neg_hi:[0,1]
	v_pk_add_f16 v26, v4, v24 op_sel:[0,1] op_sel_hi:[1,0]
	v_pk_fma_f16 v31, 0x370e, v19, v8 op_sel_hi:[0,1,1]
	v_pk_fma_f16 v42, 0x2b26, v18, v14 op_sel_hi:[0,1,1] neg_lo:[0,1,0] neg_hi:[0,1,0]
	ds_load_b32 v43, v130 offset:2312
	ds_load_2addr_b32 v[4:5], v130 offset0:238 offset1:255
	ds_load_2addr_b32 v[7:8], v130 offset0:68 offset1:85
	;; [unrolled: 1-line block ×3, first 2 shown]
	v_pk_fma_f16 v16, 0xb846, v9, v16 op_sel_hi:[0,1,1] neg_lo:[0,1,0] neg_hi:[0,1,0]
	v_pk_mul_f16 v21, 0x3574, v21 op_sel_hi:[0,1]
	v_pk_add_f16 v46, v26, v31
	v_pk_add_f16 v42, v42, v24
	v_pk_add_f16 v26, v26, v31 neg_lo:[0,1] neg_hi:[0,1]
	v_pk_fma_f16 v16, 0x370e, v19, v16 op_sel_hi:[0,1,1]
	v_pk_fma_f16 v18, 0x2b26, v18, v22 op_sel_hi:[0,1,1]
	;; [unrolled: 1-line block ×3, first 2 shown]
	v_alignbit_b32 v32, v33, v11, 16
	v_alignbit_b32 v11, v11, v33, 16
	v_pk_add_f16 v31, v42, v16 op_sel:[0,1] op_sel_hi:[1,0] neg_lo:[0,1] neg_hi:[0,1]
	v_pk_add_f16 v16, v42, v16 op_sel:[0,1] op_sel_hi:[1,0]
	v_pk_add_f16 v18, v18, v24
	v_pk_fma_f16 v9, 0x370e, v19, v9 op_sel_hi:[0,1,1]
	v_bfi_b32 v33, 0xffff, v38, v37
	global_wb scope:SCOPE_SE
	s_wait_dscnt 0x0
	v_bfi_b32 v42, 0xffff, v31, v16
	v_bfi_b32 v16, 0xffff, v16, v31
	v_pk_add_f16 v31, v8, v12
	v_pk_add_f16 v45, v6, v14
	;; [unrolled: 1-line block ×3, first 2 shown]
	v_pk_add_f16 v50, v18, v9 op_sel:[0,1] op_sel_hi:[1,0]
	v_pk_add_f16 v9, v18, v9 op_sel:[0,1] op_sel_hi:[1,0] neg_lo:[0,1] neg_hi:[0,1]
	v_mul_u32_u24_e32 v18, 7, v75
	v_pk_add_f16 v49, v45, v31
	v_pk_add_f16 v6, v6, v14 neg_lo:[0,1] neg_hi:[0,1]
	v_pk_add_f16 v5, v10, v5 neg_lo:[0,1] neg_hi:[0,1]
	;; [unrolled: 1-line block ×3, first 2 shown]
	v_lshl_add_u32 v102, v18, 2, v200
	v_pk_add_f16 v49, v48, v49
	v_pk_add_f16 v10, v31, v48 neg_lo:[0,1] neg_hi:[0,1]
	v_pk_add_f16 v12, v45, v31 neg_lo:[0,1] neg_hi:[0,1]
	v_pk_add_f16 v14, v5, v6
	v_pk_add_f16 v31, v8, v5 neg_lo:[0,1] neg_hi:[0,1]
	v_pk_add_f16 v18, v28, v49
	v_pk_add_f16 v28, v6, v8 neg_lo:[0,1] neg_hi:[0,1]
	v_pk_mul_f16 v10, 0x3a52, v10 op_sel_hi:[0,1]
	v_pk_mul_f16 v12, 0x39e0, v12 op_sel_hi:[0,1]
	v_pk_add_f16 v8, v14, v8
	v_pk_add_f16 v45, v48, v45 neg_lo:[0,1] neg_hi:[0,1]
	v_pk_mul_f16 v14, 0x3b00, v28 op_sel_hi:[0,1]
	v_pk_add_f16 v5, v5, v6 neg_lo:[0,1] neg_hi:[0,1]
	v_pk_mul_f16 v6, 0x3574, v31 op_sel_hi:[0,1]
	v_pk_fma_f16 v28, 0x3cab, v49, v18 op_sel_hi:[0,1,1] neg_lo:[0,1,0] neg_hi:[0,1,0]
	v_pk_add_f16 v49, v10, v12 op_sel:[1,1] op_sel_hi:[0,0] neg_lo:[1,1] neg_hi:[1,1]
	v_pk_fma_f16 v31, 0x3574, v31, v14 op_sel_hi:[0,1,1] neg_lo:[0,1,1] neg_hi:[0,1,1]
	v_pk_fma_f16 v12, 0x2b26, v45, v12 op_sel_hi:[0,1,1] neg_lo:[0,1,0] neg_hi:[0,1,0]
	;; [unrolled: 1-line block ×3, first 2 shown]
	v_pk_fma_f16 v10, 0x2b26, v45, v10 op_sel_hi:[0,1,1]
	v_pk_fma_f16 v5, 0xb846, v5, v6 op_sel_hi:[0,1,1]
	v_pk_add_f16 v48, v49, v28 op_sel:[0,1] op_sel_hi:[1,0]
	v_pk_fma_f16 v6, 0x370e, v8, v31 op_sel_hi:[0,1,1]
	v_pk_add_f16 v12, v12, v28
	v_pk_fma_f16 v14, 0x370e, v8, v14 op_sel_hi:[0,1,1]
	v_pk_add_f16 v10, v10, v28
	;; [unrolled: 2-line block ×3, first 2 shown]
	v_pk_add_f16 v6, v48, v6 neg_lo:[0,1] neg_hi:[0,1]
	v_pk_add_f16 v28, v12, v14 op_sel:[0,1] op_sel_hi:[1,0] neg_lo:[0,1] neg_hi:[0,1]
	s_barrier_signal -1
	v_pk_add_f16 v31, v10, v5 op_sel:[0,1] op_sel_hi:[1,0]
	v_pk_add_f16 v5, v10, v5 op_sel:[0,1] op_sel_hi:[1,0] neg_lo:[0,1] neg_hi:[0,1]
	v_pk_add_f16 v10, v12, v14 op_sel:[0,1] op_sel_hi:[1,0]
	v_alignbit_b32 v12, v6, v8, 16
	v_alignbit_b32 v6, v8, v6, 16
	v_bfi_b32 v8, 0xffff, v37, v38
	v_bfi_b32 v14, 0xffff, v31, v5
	;; [unrolled: 1-line block ×5, first 2 shown]
	s_barrier_wait -1
	global_inv scope:SCOPE_SE
	ds_store_2addr_b32 v106, v18, v14 offset1:1
	ds_store_2addr_b32 v106, v12, v45 offset0:2 offset1:3
	ds_store_2addr_b32 v106, v10, v6 offset0:4 offset1:5
	ds_store_b32 v106, v5 offset:24
	v_bfi_b32 v5, 0xffff, v17, v20
	v_bfi_b32 v44, 0xffff, v20, v17
	v_pk_add_f16 v21, v23, v43
	v_pk_add_f16 v24, v4, v25
	ds_store_2addr_b32 v104, v29, v8 offset1:1
	ds_store_2addr_b32 v104, v32, v36 offset0:2 offset1:3
	ds_store_2addr_b32 v104, v34, v11 offset0:4 offset1:5
	ds_store_b32 v104, v33 offset:24
	ds_store_2addr_b32 v103, v30, v5 offset1:1
	ds_store_2addr_b32 v103, v35, v39 offset0:2 offset1:3
	ds_store_2addr_b32 v103, v40, v41 offset0:4 offset1:5
	ds_store_b32 v103, v44 offset:24
	v_pk_add_f16 v4, v4, v25 neg_lo:[0,1] neg_hi:[0,1]
	v_pk_add_f16 v5, v13, v27 neg_lo:[0,1] neg_hi:[0,1]
	;; [unrolled: 1-line block ×3, first 2 shown]
	v_pk_add_f16 v19, v27, v13
	v_pk_add_f16 v47, v24, v21
	v_pk_add_f16 v10, v24, v21 neg_lo:[0,1] neg_hi:[0,1]
	v_pk_add_f16 v11, v5, v4
	v_pk_add_f16 v12, v4, v6 neg_lo:[0,1] neg_hi:[0,1]
	v_pk_add_f16 v8, v21, v19 neg_lo:[0,1] neg_hi:[0,1]
	v_pk_add_f16 v47, v19, v47
	v_pk_add_f16 v13, v6, v5 neg_lo:[0,1] neg_hi:[0,1]
	v_pk_add_f16 v6, v11, v6
	v_pk_mul_f16 v11, 0x3b00, v12 op_sel_hi:[0,1]
	v_pk_mul_f16 v8, 0x3a52, v8 op_sel_hi:[0,1]
	v_pk_add_f16 v7, v7, v47
	v_pk_mul_f16 v10, 0x39e0, v10 op_sel_hi:[0,1]
	v_pk_add_f16 v17, v19, v24 neg_lo:[0,1] neg_hi:[0,1]
	v_pk_add_f16 v4, v5, v4 neg_lo:[0,1] neg_hi:[0,1]
	v_pk_fma_f16 v5, 0x3574, v13, v11 op_sel_hi:[0,1,1] neg_lo:[0,1,1] neg_hi:[0,1,1]
	v_pk_mul_f16 v13, 0x3574, v13 op_sel_hi:[0,1]
	v_pk_fma_f16 v12, 0x3cab, v47, v7 op_sel_hi:[0,1,1] neg_lo:[0,1,0] neg_hi:[0,1,0]
	v_pk_add_f16 v14, v8, v10 op_sel:[1,1] op_sel_hi:[0,0] neg_lo:[1,1] neg_hi:[1,1]
	v_pk_fma_f16 v10, 0x2b26, v17, v10 op_sel_hi:[0,1,1] neg_lo:[0,1,0] neg_hi:[0,1,0]
	v_pk_fma_f16 v11, 0xb846, v4, v11 op_sel_hi:[0,1,1] neg_lo:[0,1,0] neg_hi:[0,1,0]
	v_pk_fma_f16 v8, 0x2b26, v17, v8 op_sel_hi:[0,1,1]
	v_pk_fma_f16 v4, 0xb846, v4, v13 op_sel_hi:[0,1,1]
	v_alignbit_b32 v22, v26, v46, 16
	v_alignbit_b32 v26, v46, v26, 16
	v_bfi_b32 v46, 0xffff, v9, v50
	v_bfi_b32 v9, 0xffff, v50, v9
	v_pk_add_f16 v10, v10, v12
	v_pk_fma_f16 v11, 0x370e, v6, v11 op_sel_hi:[0,1,1]
	v_pk_add_f16 v8, v8, v12
	v_pk_fma_f16 v4, 0x370e, v6, v4 op_sel_hi:[0,1,1]
	v_pk_add_f16 v14, v14, v12 op_sel:[0,1] op_sel_hi:[1,0]
	v_pk_fma_f16 v5, 0x370e, v6, v5 op_sel_hi:[0,1,1]
	v_pk_add_f16 v6, v10, v11 op_sel:[0,1] op_sel_hi:[1,0] neg_lo:[0,1] neg_hi:[0,1]
	v_pk_add_f16 v10, v10, v11 op_sel:[0,1] op_sel_hi:[1,0]
	ds_store_2addr_b32 v105, v15, v9 offset1:1
	v_pk_add_f16 v9, v8, v4 op_sel:[0,1] op_sel_hi:[1,0]
	v_pk_add_f16 v48, v8, v4 op_sel:[0,1] op_sel_hi:[1,0] neg_lo:[0,1] neg_hi:[0,1]
	v_pk_add_f16 v13, v14, v5
	v_pk_add_f16 v5, v14, v5 neg_lo:[0,1] neg_hi:[0,1]
	v_bfi_b32 v8, 0xffff, v6, v10
	v_bfi_b32 v6, 0xffff, v10, v6
	;; [unrolled: 1-line block ×4, first 2 shown]
	v_alignbit_b32 v4, v5, v13, 16
	v_alignbit_b32 v5, v13, v5, 16
	ds_store_2addr_b32 v105, v22, v42 offset0:2 offset1:3
	ds_store_2addr_b32 v105, v16, v26 offset0:4 offset1:5
	ds_store_b32 v105, v46 offset:24
	ds_store_2addr_b32 v102, v7, v10 offset1:1
	ds_store_2addr_b32 v102, v4, v8 offset0:2 offset1:3
	ds_store_2addr_b32 v102, v6, v5 offset0:4 offset1:5
	ds_store_b32 v102, v11 offset:24
	v_add_nc_u32_e32 v4, 0x200, v130
	global_wb scope:SCOPE_SE
	s_wait_dscnt 0x0
	s_barrier_signal -1
	s_barrier_wait -1
	global_inv scope:SCOPE_SE
	ds_load_2addr_b32 v[50:51], v130 offset1:17
	ds_load_2addr_b32 v[70:71], v130 offset0:35 offset1:52
	ds_load_2addr_b32 v[25:26], v130 offset0:70 offset1:87
	;; [unrolled: 1-line block ×16, first 2 shown]
	v_lshrrev_b32_e32 v73, 16, v9
                                        ; implicit-def: $vgpr12
                                        ; implicit-def: $vgpr13
                                        ; implicit-def: $vgpr10
                                        ; implicit-def: $vgpr9
	s_and_saveexec_b32 s0, vcc_lo
	s_cbranch_execz .LBB0_3
; %bb.2:
	v_add_nc_u32_e32 v10, 0x400, v200
	v_add_nc_u32_e32 v8, 0x200, v200
	v_add_nc_u32_e32 v27, 0x800, v200
	ds_load_2addr_b32 v[48:49], v200 offset0:34 offset1:69
	ds_load_2addr_b32 v[0:1], v200 offset0:104 offset1:139
	;; [unrolled: 1-line block ×8, first 2 shown]
	ds_load_b32 v112, v200 offset:2376
	s_wait_dscnt 0x8
	v_lshrrev_b32_e32 v73, 16, v48
	v_lshrrev_b32_e32 v208, 16, v49
	s_wait_dscnt 0x7
	v_lshrrev_b32_e32 v207, 16, v0
	v_lshrrev_b32_e32 v125, 16, v1
	;; [unrolled: 3-line block ×8, first 2 shown]
	s_wait_dscnt 0x0
	v_lshrrev_b32_e32 v124, 16, v112
.LBB0_3:
	s_wait_alu 0xfffe
	s_or_b32 exec_lo, exec_lo, s0
	v_and_b32_e32 v36, 0xff, v186
	s_wait_dscnt 0xf
	v_lshrrev_b32_e32 v27, 16, v70
	s_wait_dscnt 0xe
	v_lshrrev_b32_e32 v28, 16, v25
	s_wait_dscnt 0xd
	v_lshrrev_b32_e32 v29, 16, v68
	s_wait_dscnt 0xc
	v_lshrrev_b32_e32 v30, 16, v23
	v_mul_lo_u16 v36, v36, 37
	s_wait_dscnt 0xb
	v_lshrrev_b32_e32 v31, 16, v66
	s_wait_dscnt 0xa
	v_lshrrev_b32_e32 v32, 16, v64
	;; [unrolled: 2-line block ×4, first 2 shown]
	v_lshrrev_b16 v36, 8, v36
	s_wait_dscnt 0x7
	v_lshrrev_b32_e32 v35, 16, v62
	s_wait_dscnt 0x6
	v_lshrrev_b32_e32 v77, 16, v60
	;; [unrolled: 2-line block ×4, first 2 shown]
	v_sub_nc_u16 v37, v186, v36
	s_wait_dscnt 0x3
	v_lshrrev_b32_e32 v80, 16, v58
	s_wait_dscnt 0x2
	v_lshrrev_b32_e32 v81, 16, v6
	;; [unrolled: 2-line block ×4, first 2 shown]
	v_lshrrev_b16 v37, 1, v37
	v_lshrrev_b32_e32 v84, 16, v71
	v_lshrrev_b32_e32 v85, 16, v26
	;; [unrolled: 1-line block ×4, first 2 shown]
	v_and_b32_e32 v37, 0x7f, v37
	v_lshrrev_b32_e32 v88, 16, v67
	v_lshrrev_b32_e32 v91, 16, v65
	;; [unrolled: 1-line block ×4, first 2 shown]
	v_add_nc_u16 v36, v37, v36
	v_lshrrev_b32_e32 v128, 16, v63
	v_lshrrev_b32_e32 v131, 16, v61
	v_lshrrev_b32_e32 v133, 16, v18
	v_lshrrev_b32_e32 v135, 16, v16
	v_lshrrev_b16 v149, 2, v36
	v_lshrrev_b32_e32 v137, 16, v59
	v_lshrrev_b32_e32 v139, 16, v7
	;; [unrolled: 1-line block ×4, first 2 shown]
	v_mul_lo_u16 v36, v149, 7
	v_lshrrev_b32_e32 v190, 16, v50
	v_lshrrev_b32_e32 v134, 16, v51
	s_delay_alu instid0(VALU_DEP_3) | instskip(NEXT) | instid1(VALU_DEP_1)
	v_sub_nc_u16 v36, v186, v36
	v_and_b32_e32 v202, 0xff, v36
	s_delay_alu instid0(VALU_DEP_1)
	v_lshlrev_b32_e32 v89, 6, v202
	s_clause 0x1
	global_load_b128 v[36:39], v89, s[10:11]
	global_load_b128 v[44:47], v89, s[10:11] offset:32
	s_wait_loadcnt 0x1
	v_lshrrev_b32_e32 v248, 16, v36
	v_lshrrev_b32_e32 v247, 16, v37
	v_lshrrev_b32_e32 v246, 16, v38
	v_lshrrev_b32_e32 v244, 16, v39
	s_wait_loadcnt 0x0
	v_lshrrev_b32_e32 v241, 16, v44
	v_mul_f16_e64 v40, v27, v248
	v_mul_f16_e64 v204, v70, v248
	;; [unrolled: 1-line block ×5, first 2 shown]
	v_fma_f16 v203, v70, v36, -v40
	global_load_b128 v[40:43], v89, s[10:11] offset:16
	v_fmac_f16_e64 v204, v27, v36
	v_mul_f16_e64 v27, v28, v247
	v_fmac_f16_e32 v118, v35, v44
	v_lshrrev_b32_e32 v239, 16, v45
	v_lshrrev_b32_e32 v237, 16, v46
	;; [unrolled: 1-line block ×3, first 2 shown]
	v_fma_f16 v197, v25, v37, -v27
	v_mul_f16_e64 v25, v29, v246
	v_mul_f16_e64 v188, v68, v246
	;; [unrolled: 1-line block ×4, first 2 shown]
	v_fmac_f16_e64 v198, v28, v37
	v_fma_f16 v185, v68, v38, -v25
	v_mul_f16_e64 v25, v30, v244
	v_fmac_f16_e64 v188, v29, v38
	v_fmac_f16_e64 v180, v30, v39
	v_mul_f16_e64 v122, v60, v239
	v_fmac_f16_e64 v168, v78, v46
	v_fma_f16 v178, v23, v39, -v25
	v_fmac_f16_e64 v176, v79, v47
	s_delay_alu instid0(VALU_DEP_4)
	v_fmac_f16_e32 v122, v77, v45
	s_wait_loadcnt 0x0
	v_lshrrev_b32_e32 v245, 16, v40
	v_lshrrev_b32_e32 v235, 16, v41
	;; [unrolled: 1-line block ×4, first 2 shown]
	s_delay_alu instid0(VALU_DEP_4) | instskip(NEXT) | instid1(VALU_DEP_4)
	v_mul_f16_e64 v23, v31, v245
	v_mul_f16_e64 v126, v64, v235
	s_delay_alu instid0(VALU_DEP_4) | instskip(NEXT) | instid1(VALU_DEP_4)
	v_mul_f16_e64 v120, v21, v234
	v_mul_f16_e64 v116, v19, v233
	;; [unrolled: 1-line block ×3, first 2 shown]
	v_fma_f16 v170, v66, v40, -v23
	v_mul_f16_e64 v23, v32, v235
	v_fmac_f16_e32 v126, v32, v41
	v_fmac_f16_e32 v120, v33, v42
	;; [unrolled: 1-line block ×3, first 2 shown]
	v_fmac_f16_e64 v172, v31, v40
	v_fma_f16 v123, v64, v41, -v23
	v_mul_f16_e64 v23, v33, v234
	s_delay_alu instid0(VALU_DEP_1) | instskip(SKIP_1) | instid1(VALU_DEP_1)
	v_fma_f16 v119, v21, v42, -v23
	v_mul_f16_e64 v21, v34, v233
	v_fma_f16 v115, v19, v43, -v21
	v_mul_f16_e64 v19, v35, v241
	global_load_b128 v[32:35], v89, s[10:11] offset:48
	v_fma_f16 v117, v62, v44, -v19
	v_mul_f16_e64 v19, v77, v239
	s_delay_alu instid0(VALU_DEP_1) | instskip(SKIP_1) | instid1(VALU_DEP_1)
	v_fma_f16 v121, v60, v45, -v19
	v_mul_f16_e64 v19, v78, v237
	v_fma_f16 v151, v17, v46, -v19
	v_mul_f16_e64 v17, v79, v236
	s_delay_alu instid0(VALU_DEP_1)
	v_fma_f16 v174, v15, v47, -v17
	s_wait_loadcnt 0x0
	v_lshrrev_b32_e32 v243, 16, v32
	v_lshrrev_b32_e32 v242, 16, v33
	;; [unrolled: 1-line block ×4, first 2 shown]
	s_delay_alu instid0(VALU_DEP_4) | instskip(NEXT) | instid1(VALU_DEP_4)
	v_mul_f16_e64 v15, v80, v243
	v_mul_f16_e64 v195, v6, v242
	s_delay_alu instid0(VALU_DEP_4) | instskip(NEXT) | instid1(VALU_DEP_4)
	v_mul_f16_e64 v201, v4, v240
	v_mul_f16_e64 v206, v2, v238
	;; [unrolled: 1-line block ×3, first 2 shown]
	v_fma_f16 v182, v58, v32, -v15
	v_mul_f16_e64 v15, v81, v242
	v_fmac_f16_e64 v195, v81, v33
	v_fmac_f16_e64 v201, v82, v34
	;; [unrolled: 1-line block ×4, first 2 shown]
	v_fma_f16 v192, v6, v33, -v15
	v_mul_f16_e64 v6, v82, v240
	s_delay_alu instid0(VALU_DEP_1) | instskip(SKIP_1) | instid1(VALU_DEP_1)
	v_fma_f16 v199, v4, v34, -v6
	v_mul_f16_e64 v4, v83, v238
	v_fma_f16 v205, v2, v35, -v4
	v_and_b32_e32 v2, 0xff, v72
	s_delay_alu instid0(VALU_DEP_1) | instskip(NEXT) | instid1(VALU_DEP_1)
	v_mul_lo_u16 v2, v2, 37
	v_lshrrev_b16 v2, 8, v2
	s_delay_alu instid0(VALU_DEP_1) | instskip(NEXT) | instid1(VALU_DEP_1)
	v_sub_nc_u16 v4, v72, v2
	v_lshrrev_b16 v4, 1, v4
	s_delay_alu instid0(VALU_DEP_1) | instskip(NEXT) | instid1(VALU_DEP_1)
	v_and_b32_e32 v4, 0x7f, v4
	v_add_nc_u16 v2, v4, v2
	s_delay_alu instid0(VALU_DEP_1) | instskip(NEXT) | instid1(VALU_DEP_1)
	v_lshrrev_b16 v113, 2, v2
	v_mul_lo_u16 v2, v113, 7
	s_delay_alu instid0(VALU_DEP_1) | instskip(NEXT) | instid1(VALU_DEP_1)
	v_sub_nc_u16 v2, v72, v2
	v_and_b32_e32 v114, 0xff, v2
	s_delay_alu instid0(VALU_DEP_1)
	v_lshlrev_b32_e32 v2, 6, v114
	global_load_b128 v[28:31], v2, s[10:11]
	s_wait_loadcnt 0x0
	v_lshrrev_b32_e32 v232, 16, v28
	v_lshrrev_b32_e32 v231, 16, v29
	;; [unrolled: 1-line block ×4, first 2 shown]
	s_delay_alu instid0(VALU_DEP_4) | instskip(NEXT) | instid1(VALU_DEP_4)
	v_mul_f16_e64 v4, v84, v232
	v_mul_f16_e64 v154, v26, v231
	s_delay_alu instid0(VALU_DEP_4) | instskip(NEXT) | instid1(VALU_DEP_4)
	v_mul_f16_e64 v143, v69, v230
	v_mul_f16_e64 v132, v24, v228
	;; [unrolled: 1-line block ×3, first 2 shown]
	v_fma_f16 v160, v71, v28, -v4
	v_mul_f16_e64 v4, v85, v231
	v_fmac_f16_e64 v154, v85, v29
	v_fmac_f16_e64 v143, v86, v30
	;; [unrolled: 1-line block ×4, first 2 shown]
	v_fma_f16 v152, v26, v29, -v4
	v_mul_f16_e64 v4, v86, v230
	s_delay_alu instid0(VALU_DEP_1) | instskip(SKIP_1) | instid1(VALU_DEP_1)
	v_fma_f16 v140, v69, v30, -v4
	v_mul_f16_e64 v4, v87, v228
	v_fma_f16 v129, v24, v31, -v4
	global_load_b128 v[24:27], v2, s[10:11] offset:16
	s_wait_loadcnt 0x0
	v_lshrrev_b32_e32 v229, 16, v24
	v_lshrrev_b32_e32 v227, 16, v25
	;; [unrolled: 1-line block ×4, first 2 shown]
	s_delay_alu instid0(VALU_DEP_4) | instskip(SKIP_1) | instid1(VALU_DEP_4)
	v_mul_f16_e64 v4, v88, v229
	v_mul_f16_e64 v90, v67, v229
	;; [unrolled: 1-line block ×3, first 2 shown]
	s_delay_alu instid0(VALU_DEP_4)
	v_mul_f16_e64 v78, v20, v225
	v_mul_f16_e64 v86, v65, v227
	v_fma_f16 v89, v67, v24, -v4
	v_mul_f16_e64 v4, v91, v227
	v_fmac_f16_e32 v90, v88, v24
	v_fmac_f16_e32 v82, v92, v26
	;; [unrolled: 1-line block ×4, first 2 shown]
	v_fma_f16 v85, v65, v25, -v4
	v_mul_f16_e64 v4, v92, v226
	s_delay_alu instid0(VALU_DEP_1) | instskip(SKIP_1) | instid1(VALU_DEP_1)
	v_fma_f16 v81, v22, v26, -v4
	v_mul_f16_e64 v4, v127, v225
	v_fma_f16 v77, v20, v27, -v4
	global_load_b128 v[20:23], v2, s[10:11] offset:32
	s_wait_loadcnt 0x0
	v_lshrrev_b32_e32 v224, 16, v20
	v_lshrrev_b32_e32 v223, 16, v21
	v_lshrrev_b32_e32 v222, 16, v22
	v_lshrrev_b32_e32 v6, 16, v23
	s_delay_alu instid0(VALU_DEP_4) | instskip(SKIP_1) | instid1(VALU_DEP_4)
	v_mul_f16_e64 v4, v128, v224
	v_mul_f16_e64 v80, v63, v224
	;; [unrolled: 1-line block ×3, first 2 shown]
	s_delay_alu instid0(VALU_DEP_4)
	v_mul_f16_e32 v92, v16, v6
	v_mul_f16_e64 v84, v61, v223
	v_fma_f16 v79, v63, v20, -v4
	v_mul_f16_e64 v4, v131, v223
	v_fmac_f16_e64 v80, v128, v20
	v_fmac_f16_e64 v88, v133, v22
	;; [unrolled: 1-line block ×4, first 2 shown]
	v_fma_f16 v83, v61, v21, -v4
	v_mul_f16_e64 v4, v133, v222
	v_sub_f16_e64 v133, v204, v206
	s_delay_alu instid0(VALU_DEP_2) | instskip(SKIP_1) | instid1(VALU_DEP_3)
	v_fma_f16 v87, v18, v22, -v4
	v_mul_f16_e64 v4, v135, v6
	v_mul_f16_e64 v135, 0xb5c8, v133
	;; [unrolled: 1-line block ×5, first 2 shown]
	v_fma_f16 v91, v16, v23, -v4
	global_load_b128 v[16:19], v2, s[10:11] offset:48
	s_wait_loadcnt 0x0
	v_lshrrev_b32_e32 v58, 16, v16
	v_lshrrev_b32_e32 v15, 16, v17
	;; [unrolled: 1-line block ×4, first 2 shown]
	s_delay_alu instid0(VALU_DEP_4) | instskip(NEXT) | instid1(VALU_DEP_4)
	v_mul_f16_e64 v2, v137, v58
	v_mul_f16_e64 v147, v7, v15
	s_delay_alu instid0(VALU_DEP_4) | instskip(NEXT) | instid1(VALU_DEP_4)
	v_mul_f16_e64 v158, v5, v6
	v_mul_f16_e64 v166, v3, v4
	v_mul_f16_e64 v138, v59, v58
	v_fma_f16 v136, v59, v16, -v2
	v_mul_f16_e64 v2, v139, v15
	v_fmac_f16_e64 v147, v139, v17
	v_fmac_f16_e64 v166, v142, v19
	;; [unrolled: 1-line block ×4, first 2 shown]
	v_fma_f16 v145, v7, v17, -v2
	v_mul_f16_e64 v2, v141, v6
	s_delay_alu instid0(VALU_DEP_1) | instskip(SKIP_2) | instid1(VALU_DEP_2)
	v_fma_f16 v155, v5, v18, -v2
	v_mul_f16_e64 v2, v142, v4
	v_mul_f16_e64 v142, 0xb964, v133
	v_fma_f16 v164, v3, v19, -v2
	v_and_b32_e32 v2, 0xff, v74
	s_delay_alu instid0(VALU_DEP_1) | instskip(NEXT) | instid1(VALU_DEP_1)
	v_mul_lo_u16 v2, v2, 37
	v_lshrrev_b16 v2, 8, v2
	s_delay_alu instid0(VALU_DEP_1) | instskip(NEXT) | instid1(VALU_DEP_1)
	v_sub_nc_u16 v3, v74, v2
	v_lshrrev_b16 v3, 1, v3
	s_delay_alu instid0(VALU_DEP_1) | instskip(NEXT) | instid1(VALU_DEP_1)
	v_and_b32_e32 v3, 0x7f, v3
	v_add_nc_u16 v2, v3, v2
	s_delay_alu instid0(VALU_DEP_1) | instskip(NEXT) | instid1(VALU_DEP_1)
	v_lshrrev_b16 v2, 2, v2
	v_mul_lo_u16 v2, v2, 7
	s_delay_alu instid0(VALU_DEP_1) | instskip(NEXT) | instid1(VALU_DEP_1)
	v_sub_nc_u16 v63, v74, v2
	v_lshlrev_b16 v2, 4, v63
	s_delay_alu instid0(VALU_DEP_1) | instskip(NEXT) | instid1(VALU_DEP_1)
	v_and_b32_e32 v2, 0xf0, v2
	v_lshlrev_b32_e32 v15, 2, v2
	global_load_b128 v[4:7], v15, s[10:11]
	s_wait_loadcnt 0x0
	v_lshrrev_b32_e32 v58, 16, v4
	v_lshrrev_b32_e32 v59, 16, v5
	;; [unrolled: 1-line block ×4, first 2 shown]
	s_delay_alu instid0(VALU_DEP_4) | instskip(NEXT) | instid1(VALU_DEP_1)
	v_mul_f16_e64 v2, v208, v58
	v_fma_f16 v64, v49, v4, -v2
	v_mul_f16_e64 v2, v207, v59
	v_mul_f16_e32 v49, v49, v58
	v_mul_f16_e32 v59, v0, v59
	s_delay_alu instid0(VALU_DEP_3) | instskip(SKIP_2) | instid1(VALU_DEP_4)
	v_fma_f16 v58, v0, v5, -v2
	v_mul_f16_e32 v0, v125, v61
	v_mul_f16_e32 v61, v1, v61
	v_fmac_f16_e64 v59, v207, v5
	v_mul_f16_e64 v207, 0xb836, v133
	v_fmac_f16_e64 v49, v208, v4
	v_fma_f16 v60, v1, v6, -v0
	v_mul_f16_e32 v0, v101, v3
	v_fmac_f16_e32 v61, v125, v6
	s_delay_alu instid0(VALU_DEP_2)
	v_fma_f16 v62, v56, v7, -v0
	v_mul_f16_e32 v56, v56, v3
	global_load_b128 v[0:3], v15, s[10:11] offset:16
	v_fmac_f16_e32 v56, v101, v7
	s_wait_loadcnt 0x0
	v_lshrrev_b32_e32 v66, 16, v0
	v_lshrrev_b32_e32 v67, 16, v1
	;; [unrolled: 1-line block ×4, first 2 shown]
	s_delay_alu instid0(VALU_DEP_4) | instskip(NEXT) | instid1(VALU_DEP_1)
	v_mul_f16_e32 v65, v100, v66
	v_fma_f16 v65, v57, v0, -v65
	v_mul_f16_e32 v57, v57, v66
	v_mul_f16_e32 v66, v99, v67
	;; [unrolled: 1-line block ×3, first 2 shown]
	s_delay_alu instid0(VALU_DEP_3) | instskip(NEXT) | instid1(VALU_DEP_3)
	v_fmac_f16_e32 v57, v100, v0
	v_fma_f16 v66, v8, v1, -v66
	v_mul_f16_e32 v8, v98, v69
	v_mul_f16_e32 v69, v9, v69
	v_fmac_f16_e32 v67, v99, v1
	s_delay_alu instid0(VALU_DEP_3) | instskip(SKIP_3) | instid1(VALU_DEP_3)
	v_fma_f16 v68, v9, v2, -v8
	v_mul_f16_e32 v8, v10, v71
	v_mul_f16_e32 v71, v11, v71
	v_fmac_f16_e32 v69, v98, v2
	v_fma_f16 v70, v11, v3, -v8
	s_delay_alu instid0(VALU_DEP_3)
	v_fmac_f16_e32 v71, v10, v3
	global_load_b128 v[8:11], v15, s[10:11] offset:32
	s_wait_loadcnt 0x0
	v_lshrrev_b32_e32 v99, 16, v8
	v_lshrrev_b32_e32 v101, 16, v9
	;; [unrolled: 1-line block ×4, first 2 shown]
	s_delay_alu instid0(VALU_DEP_4) | instskip(SKIP_1) | instid1(VALU_DEP_2)
	v_mul_f16_e32 v98, v97, v99
	v_mul_f16_e32 v99, v12, v99
	v_fma_f16 v98, v12, v8, -v98
	v_mul_f16_e32 v12, v96, v101
	v_mul_f16_e32 v101, v13, v101
	s_delay_alu instid0(VALU_DEP_4)
	v_fmac_f16_e32 v99, v97, v8
	v_mul_f16_e32 v97, v14, v125
	v_sub_f16_e64 v219, v70, v98
	v_fma_f16 v100, v13, v9, -v12
	v_mul_f16_e32 v12, v95, v125
	v_fmac_f16_e32 v101, v96, v9
	v_fmac_f16_e32 v97, v95, v10
	v_add_f16_e64 v217, v71, v99
	v_sub_f16_e64 v221, v71, v99
	v_fma_f16 v96, v14, v10, -v12
	v_mul_f16_e32 v12, v108, v127
	v_add_f16_e64 v218, v70, v98
	s_delay_alu instid0(VALU_DEP_2) | instskip(SKIP_2) | instid1(VALU_DEP_1)
	v_fma_f16 v95, v54, v11, -v12
	global_load_b128 v[12:15], v15, s[10:11] offset:48
	v_mul_f16_e32 v54, v54, v127
	v_fmac_f16_e32 v54, v108, v11
	s_wait_loadcnt 0x0
	v_lshrrev_b32_e32 v125, 16, v12
	v_lshrrev_b32_e32 v127, 16, v13
	;; [unrolled: 1-line block ×4, first 2 shown]
	s_delay_alu instid0(VALU_DEP_4) | instskip(NEXT) | instid1(VALU_DEP_1)
	v_mul_f16_e32 v108, v109, v125
	v_fma_f16 v108, v55, v12, -v108
	v_mul_f16_e32 v55, v55, v125
	v_add_f16_e64 v125, v190, v204
	s_delay_alu instid0(VALU_DEP_2) | instskip(SKIP_1) | instid1(VALU_DEP_3)
	v_fmac_f16_e32 v55, v109, v12
	v_mul_f16_e32 v109, v110, v127
	v_add_f16_e64 v125, v125, v198
	s_delay_alu instid0(VALU_DEP_2) | instskip(SKIP_1) | instid1(VALU_DEP_3)
	v_fma_f16 v109, v52, v13, -v109
	v_mul_f16_e32 v52, v52, v127
	v_add_f16_e64 v125, v125, v188
	s_delay_alu instid0(VALU_DEP_2) | instskip(SKIP_1) | instid1(VALU_DEP_3)
	v_fmac_f16_e32 v52, v110, v13
	v_mul_f16_e64 v110, v111, v128
	v_add_f16_e64 v125, v125, v180
	s_delay_alu instid0(VALU_DEP_2) | instskip(SKIP_1) | instid1(VALU_DEP_3)
	v_fma_f16 v110, v53, v14, -v110
	v_mul_f16_e64 v53, v53, v128
	v_add_f16_e64 v125, v125, v172
	v_add_f16_e64 v128, v204, v206
	s_delay_alu instid0(VALU_DEP_3) | instskip(SKIP_1) | instid1(VALU_DEP_4)
	v_fmac_f16_e32 v53, v111, v14
	v_mul_f16_e64 v111, v124, v131
	v_add_f16_e32 v125, v125, v126
	s_delay_alu instid0(VALU_DEP_2) | instskip(SKIP_1) | instid1(VALU_DEP_3)
	v_fma_f16 v111, v112, v15, -v111
	v_mul_f16_e64 v112, v112, v131
	v_add_f16_e32 v125, v125, v120
	v_sub_f16_e64 v131, v203, v205
	s_delay_alu instid0(VALU_DEP_3) | instskip(SKIP_1) | instid1(VALU_DEP_4)
	v_fmac_f16_e32 v112, v124, v15
	v_add_f16_e64 v124, v50, v203
	v_add_f16_e32 v125, v125, v116
	s_delay_alu instid0(VALU_DEP_4)
	v_mul_f16_e64 v139, 0xb5c8, v131
	v_mul_f16_e64 v146, 0xb964, v131
	;; [unrolled: 1-line block ×3, first 2 shown]
	v_add_f16_e64 v124, v124, v197
	v_add_f16_e32 v125, v125, v118
	v_mul_f16_e64 v163, 0xbbf7, v131
	v_mul_f16_e64 v171, 0xbbb2, v131
	;; [unrolled: 1-line block ×3, first 2 shown]
	v_add_f16_e64 v124, v124, v185
	v_add_f16_e32 v125, v125, v122
	v_fma_f16 v141, 0x3b76, v128, v139
	v_fma_f16 v139, v128, 0x3b76, -v139
	v_fma_f16 v148, 0x39e9, v128, v146
	v_add_f16_e64 v124, v124, v178
	v_add_f16_e64 v125, v125, v168
	v_fma_f16 v146, v128, 0x39e9, -v146
	v_fma_f16 v157, 0x3722, v128, v156
	v_fma_f16 v156, v128, 0x3722, -v156
	v_add_f16_e64 v124, v124, v170
	v_add_f16_e64 v125, v125, v176
	v_fma_f16 v165, 0x2de8, v128, v163
	v_fma_f16 v163, v128, 0x2de8, -v163
	v_fma_f16 v173, 0xb461, v128, v171
	v_add_f16_e32 v124, v124, v123
	v_add_f16_e64 v125, v125, v183
	v_fma_f16 v171, v128, 0xb461, -v171
	v_fma_f16 v210, 0xbacd, v128, v209
	v_fma_f16 v209, v128, 0xbacd, -v209
	v_add_f16_e32 v124, v124, v119
	v_add_f16_e64 v125, v125, v195
	v_add_f16_e64 v141, v190, v141
	v_add_f16_e64 v139, v190, v139
	v_add_f16_e64 v148, v190, v148
	v_add_f16_e32 v124, v124, v115
	v_add_f16_e64 v127, v125, v201
	v_add_f16_e64 v146, v190, v146
	v_add_f16_e64 v157, v190, v157
	v_add_f16_e64 v156, v190, v156
	;; [unrolled: 5-line block ×3, first 2 shown]
	v_add_f16_e32 v124, v124, v121
	v_add_f16_e64 v210, v190, v210
	v_add_f16_e64 v209, v190, v209
	s_delay_alu instid0(VALU_DEP_3) | instskip(NEXT) | instid1(VALU_DEP_1)
	v_add_f16_e64 v124, v124, v151
	v_add_f16_e64 v124, v124, v174
	s_delay_alu instid0(VALU_DEP_1) | instskip(NEXT) | instid1(VALU_DEP_1)
	v_add_f16_e64 v124, v124, v182
	v_add_f16_e64 v124, v124, v192
	s_delay_alu instid0(VALU_DEP_1) | instskip(NEXT) | instid1(VALU_DEP_1)
	v_add_f16_e64 v124, v124, v199
	v_add_f16_e64 v125, v124, v205
	;; [unrolled: 1-line block ×4, first 2 shown]
	v_mul_f16_e64 v203, 0xba62, v133
	v_mul_f16_e64 v205, 0xba62, v131
	;; [unrolled: 1-line block ×4, first 2 shown]
	v_fma_f16 v137, v127, 0x3b76, -v135
	v_fmac_f16_e64 v135, 0x3b76, v127
	v_fma_f16 v144, v127, 0x39e9, -v142
	v_fmac_f16_e64 v142, 0x39e9, v127
	v_fma_f16 v153, v127, 0x3722, -v150
	v_fmac_f16_e64 v150, 0x3722, v127
	v_fma_f16 v161, v127, 0x2de8, -v159
	v_fmac_f16_e64 v159, 0x2de8, v127
	v_fma_f16 v169, v127, 0xb461, -v167
	v_fmac_f16_e64 v167, 0xb461, v127
	v_fma_f16 v204, v127, 0xb8d2, -v203
	v_fma_f16 v206, 0xb8d2, v128, v205
	v_fmac_f16_e64 v203, 0xb8d2, v127
	v_fma_f16 v205, v128, 0xb8d2, -v205
	v_fma_f16 v208, v127, 0xbacd, -v207
	v_fmac_f16_e64 v207, 0xbacd, v127
	v_fma_f16 v211, v127, 0xbbdd, -v133
	v_fma_f16 v212, 0xbbdd, v128, v131
	v_fmac_f16_e64 v133, 0xbbdd, v127
	v_fma_f16 v127, v128, 0xbbdd, -v131
	v_add_f16_e64 v206, v190, v206
	v_add_f16_e64 v205, v190, v205
	;; [unrolled: 1-line block ×5, first 2 shown]
	v_sub_f16_e64 v190, v198, v201
	v_add_f16_e64 v135, v50, v135
	v_add_f16_e64 v144, v50, v144
	;; [unrolled: 1-line block ×16, first 2 shown]
	v_sub_f16_e64 v133, v197, v199
	v_mul_f16_e64 v197, 0xb964, v190
	v_add_f16_e64 v131, v198, v201
	v_pack_b32_f16 v124, v125, v124
	s_delay_alu instid0(VALU_DEP_3) | instskip(SKIP_1) | instid1(VALU_DEP_2)
	v_fma_f16 v198, v128, 0x39e9, -v197
	v_fmac_f16_e64 v197, 0x39e9, v128
	v_add_f16_e64 v137, v198, v137
	v_mul_f16_e64 v198, 0xb964, v133
	s_delay_alu instid0(VALU_DEP_3) | instskip(NEXT) | instid1(VALU_DEP_2)
	v_add_f16_e64 v135, v197, v135
	v_fma_f16 v197, v131, 0x39e9, -v198
	v_fma_f16 v199, 0x39e9, v131, v198
	s_delay_alu instid0(VALU_DEP_2) | instskip(SKIP_1) | instid1(VALU_DEP_3)
	v_add_f16_e64 v139, v197, v139
	v_mul_f16_e64 v197, 0xbbf7, v190
	v_add_f16_e64 v141, v199, v141
	s_delay_alu instid0(VALU_DEP_2) | instskip(SKIP_1) | instid1(VALU_DEP_2)
	v_fma_f16 v198, v128, 0x2de8, -v197
	v_fmac_f16_e64 v197, 0x2de8, v128
	v_add_f16_e64 v144, v198, v144
	v_mul_f16_e64 v198, 0xbbf7, v133
	s_delay_alu instid0(VALU_DEP_3) | instskip(NEXT) | instid1(VALU_DEP_2)
	v_add_f16_e64 v142, v197, v142
	v_fma_f16 v197, v131, 0x2de8, -v198
	v_fma_f16 v199, 0x2de8, v131, v198
	s_delay_alu instid0(VALU_DEP_2) | instskip(SKIP_1) | instid1(VALU_DEP_3)
	v_add_f16_e64 v146, v197, v146
	v_mul_f16_e64 v197, 0xba62, v190
	v_add_f16_e64 v148, v199, v148
	s_delay_alu instid0(VALU_DEP_2) | instskip(SKIP_1) | instid1(VALU_DEP_2)
	v_fma_f16 v198, v128, 0xb8d2, -v197
	v_fmac_f16_e64 v197, 0xb8d2, v128
	v_add_f16_e64 v153, v198, v153
	v_mul_f16_e64 v198, 0xba62, v133
	s_delay_alu instid0(VALU_DEP_3) | instskip(NEXT) | instid1(VALU_DEP_2)
	v_add_f16_e64 v150, v197, v150
	v_fma_f16 v197, v131, 0xb8d2, -v198
	v_fma_f16 v199, 0xb8d2, v131, v198
	s_delay_alu instid0(VALU_DEP_2) | instskip(SKIP_1) | instid1(VALU_DEP_3)
	v_add_f16_e64 v156, v197, v156
	v_mul_f16_e64 v197, 0xb1e1, v190
	v_add_f16_e64 v157, v199, v157
	s_delay_alu instid0(VALU_DEP_2) | instskip(SKIP_1) | instid1(VALU_DEP_2)
	v_fma_f16 v198, v128, 0xbbdd, -v197
	v_fmac_f16_e64 v197, 0xbbdd, v128
	v_add_f16_e64 v161, v198, v161
	v_mul_f16_e64 v198, 0xb1e1, v133
	s_delay_alu instid0(VALU_DEP_3) | instskip(NEXT) | instid1(VALU_DEP_2)
	v_add_f16_e64 v159, v197, v159
	v_fma_f16 v197, v131, 0xbbdd, -v198
	v_fma_f16 v199, 0xbbdd, v131, v198
	s_delay_alu instid0(VALU_DEP_2) | instskip(SKIP_1) | instid1(VALU_DEP_3)
	v_add_f16_e64 v163, v197, v163
	v_mul_f16_e64 v197, 0x3836, v190
	v_add_f16_e64 v165, v199, v165
	s_delay_alu instid0(VALU_DEP_2) | instskip(SKIP_1) | instid1(VALU_DEP_2)
	v_fma_f16 v198, v128, 0xbacd, -v197
	v_fmac_f16_e64 v197, 0xbacd, v128
	v_add_f16_e64 v169, v198, v169
	v_mul_f16_e64 v198, 0x3836, v133
	s_delay_alu instid0(VALU_DEP_3) | instskip(NEXT) | instid1(VALU_DEP_2)
	v_add_f16_e64 v167, v197, v167
	v_fma_f16 v197, v131, 0xbacd, -v198
	v_fma_f16 v199, 0xbacd, v131, v198
	s_delay_alu instid0(VALU_DEP_2) | instskip(SKIP_1) | instid1(VALU_DEP_3)
	v_add_f16_e64 v171, v197, v171
	v_mul_f16_e64 v197, 0x3bb2, v190
	v_add_f16_e64 v173, v199, v173
	v_mul_f16_e64 v199, 0x3bb2, v133
	s_delay_alu instid0(VALU_DEP_3) | instskip(SKIP_1) | instid1(VALU_DEP_3)
	v_fma_f16 v198, v128, 0xb461, -v197
	v_fmac_f16_e64 v197, 0xb461, v128
	v_fma_f16 v201, 0xb461, v131, v199
	v_fma_f16 v199, v131, 0xb461, -v199
	s_delay_alu instid0(VALU_DEP_4) | instskip(NEXT) | instid1(VALU_DEP_4)
	v_add_f16_e64 v198, v198, v204
	v_add_f16_e64 v197, v197, v203
	v_mul_f16_e64 v203, 0x3b29, v190
	s_delay_alu instid0(VALU_DEP_4)
	v_add_f16_e64 v199, v199, v205
	v_mul_f16_e64 v205, 0x3b29, v133
	v_mul_f16_e64 v190, 0x35c8, v190
	;; [unrolled: 1-line block ×3, first 2 shown]
	v_fma_f16 v204, v128, 0x3722, -v203
	v_fmac_f16_e64 v203, 0x3722, v128
	v_add_f16_e64 v201, v201, v206
	v_fma_f16 v206, 0x3722, v131, v205
	v_fma_f16 v205, v131, 0x3722, -v205
	v_add_f16_e64 v204, v204, v208
	v_add_f16_e64 v203, v203, v207
	v_fma_f16 v207, v128, 0x3b76, -v190
	v_fmac_f16_e64 v190, 0x3b76, v128
	v_fma_f16 v128, v131, 0x3b76, -v133
	v_fma_f16 v208, 0x3b76, v131, v133
	v_sub_f16_e64 v133, v185, v192
	v_add_f16_e64 v131, v188, v195
	v_add_f16_e64 v50, v190, v50
	;; [unrolled: 1-line block ×4, first 2 shown]
	v_sub_f16_e64 v185, v188, v195
	v_add_f16_e64 v205, v205, v209
	v_add_f16_e64 v207, v207, v211
	;; [unrolled: 1-line block ×4, first 2 shown]
	v_mul_f16_e64 v188, 0xbb29, v185
	s_delay_alu instid0(VALU_DEP_1) | instskip(SKIP_1) | instid1(VALU_DEP_2)
	v_fma_f16 v190, v128, 0x3722, -v188
	v_fmac_f16_e64 v188, 0x3722, v128
	v_add_f16_e64 v137, v190, v137
	v_mul_f16_e64 v190, 0xbb29, v133
	s_delay_alu instid0(VALU_DEP_3) | instskip(NEXT) | instid1(VALU_DEP_2)
	v_add_f16_e64 v135, v188, v135
	v_fma_f16 v188, v131, 0x3722, -v190
	v_fma_f16 v192, 0x3722, v131, v190
	s_delay_alu instid0(VALU_DEP_2) | instskip(SKIP_1) | instid1(VALU_DEP_3)
	v_add_f16_e64 v139, v188, v139
	v_mul_f16_e64 v188, 0xba62, v185
	v_add_f16_e64 v141, v192, v141
	s_delay_alu instid0(VALU_DEP_2) | instskip(SKIP_1) | instid1(VALU_DEP_2)
	v_fma_f16 v190, v128, 0xb8d2, -v188
	v_fmac_f16_e64 v188, 0xb8d2, v128
	v_add_f16_e64 v144, v190, v144
	v_mul_f16_e64 v190, 0xba62, v133
	s_delay_alu instid0(VALU_DEP_3) | instskip(NEXT) | instid1(VALU_DEP_2)
	v_add_f16_e64 v142, v188, v142
	v_fma_f16 v188, v131, 0xb8d2, -v190
	v_fma_f16 v192, 0xb8d2, v131, v190
	s_delay_alu instid0(VALU_DEP_2) | instskip(SKIP_1) | instid1(VALU_DEP_3)
	v_add_f16_e64 v146, v188, v146
	v_mul_f16_e64 v188, 0x31e1, v185
	v_add_f16_e64 v148, v192, v148
	s_delay_alu instid0(VALU_DEP_2) | instskip(SKIP_1) | instid1(VALU_DEP_2)
	;; [unrolled: 13-line block ×4, first 2 shown]
	v_fma_f16 v190, v128, 0x39e9, -v188
	v_fmac_f16_e64 v188, 0x39e9, v128
	v_add_f16_e64 v169, v190, v169
	v_mul_f16_e64 v190, 0x3964, v133
	s_delay_alu instid0(VALU_DEP_3) | instskip(NEXT) | instid1(VALU_DEP_2)
	v_add_f16_e64 v167, v188, v167
	v_fma_f16 v188, v131, 0x39e9, -v190
	v_fma_f16 v192, 0x39e9, v131, v190
	s_delay_alu instid0(VALU_DEP_2) | instskip(SKIP_1) | instid1(VALU_DEP_3)
	v_add_f16_e64 v171, v188, v171
	v_mul_f16_e64 v188, 0xb5c8, v185
	v_add_f16_e64 v173, v192, v173
	v_mul_f16_e64 v192, 0xb5c8, v133
	s_delay_alu instid0(VALU_DEP_3) | instskip(SKIP_1) | instid1(VALU_DEP_3)
	v_fma_f16 v190, v128, 0x3b76, -v188
	v_fmac_f16_e64 v188, 0x3b76, v128
	v_fma_f16 v195, 0x3b76, v131, v192
	v_fma_f16 v192, v131, 0x3b76, -v192
	s_delay_alu instid0(VALU_DEP_4) | instskip(NEXT) | instid1(VALU_DEP_4)
	v_add_f16_e64 v190, v190, v198
	v_add_f16_e64 v188, v188, v197
	v_mul_f16_e64 v197, 0xbbf7, v185
	s_delay_alu instid0(VALU_DEP_4)
	v_add_f16_e64 v192, v192, v199
	v_mul_f16_e64 v199, 0xbbf7, v133
	v_mul_f16_e64 v185, 0xb836, v185
	;; [unrolled: 1-line block ×3, first 2 shown]
	v_fma_f16 v198, v128, 0x2de8, -v197
	v_fmac_f16_e64 v197, 0x2de8, v128
	v_add_f16_e64 v195, v195, v201
	v_fma_f16 v201, 0x2de8, v131, v199
	v_fma_f16 v199, v131, 0x2de8, -v199
	v_add_f16_e64 v198, v198, v204
	v_add_f16_e64 v197, v197, v203
	v_fma_f16 v203, v128, 0xbacd, -v185
	v_fmac_f16_e64 v185, 0xbacd, v128
	v_fma_f16 v128, v131, 0xbacd, -v133
	v_fma_f16 v204, 0xbacd, v131, v133
	v_sub_f16_e64 v133, v178, v182
	v_add_f16_e64 v131, v180, v183
	v_add_f16_e64 v50, v185, v50
	;; [unrolled: 1-line block ×4, first 2 shown]
	v_sub_f16_e64 v178, v180, v183
	v_add_f16_e64 v199, v199, v205
	v_add_f16_e64 v203, v203, v207
	v_add_f16_e64 v201, v201, v206
	v_add_f16_e64 v204, v204, v208
	v_mul_f16_e64 v180, 0xbbf7, v178
	s_delay_alu instid0(VALU_DEP_1) | instskip(SKIP_1) | instid1(VALU_DEP_2)
	v_fma_f16 v182, v128, 0x2de8, -v180
	v_fmac_f16_e64 v180, 0x2de8, v128
	v_add_f16_e64 v137, v182, v137
	v_mul_f16_e64 v182, 0xbbf7, v133
	s_delay_alu instid0(VALU_DEP_3) | instskip(NEXT) | instid1(VALU_DEP_2)
	v_add_f16_e64 v135, v180, v135
	v_fma_f16 v180, v131, 0x2de8, -v182
	v_fma_f16 v183, 0x2de8, v131, v182
	s_delay_alu instid0(VALU_DEP_2) | instskip(SKIP_1) | instid1(VALU_DEP_3)
	v_add_f16_e64 v139, v180, v139
	v_mul_f16_e64 v180, 0xb1e1, v178
	v_add_f16_e64 v141, v183, v141
	s_delay_alu instid0(VALU_DEP_2) | instskip(SKIP_1) | instid1(VALU_DEP_2)
	v_fma_f16 v182, v128, 0xbbdd, -v180
	v_fmac_f16_e64 v180, 0xbbdd, v128
	v_add_f16_e64 v144, v182, v144
	v_mul_f16_e64 v182, 0xb1e1, v133
	s_delay_alu instid0(VALU_DEP_3) | instskip(NEXT) | instid1(VALU_DEP_2)
	v_add_f16_e64 v142, v180, v142
	v_fma_f16 v180, v131, 0xbbdd, -v182
	v_fma_f16 v183, 0xbbdd, v131, v182
	s_delay_alu instid0(VALU_DEP_2) | instskip(SKIP_1) | instid1(VALU_DEP_3)
	v_add_f16_e64 v146, v180, v146
	v_mul_f16_e64 v180, 0x3bb2, v178
	v_add_f16_e64 v148, v183, v148
	s_delay_alu instid0(VALU_DEP_2) | instskip(SKIP_1) | instid1(VALU_DEP_2)
	;; [unrolled: 13-line block ×4, first 2 shown]
	v_fma_f16 v182, v128, 0x3722, -v180
	v_fmac_f16_e64 v180, 0x3722, v128
	v_add_f16_e64 v169, v182, v169
	v_mul_f16_e64 v182, 0xbb29, v133
	s_delay_alu instid0(VALU_DEP_3) | instskip(NEXT) | instid1(VALU_DEP_2)
	v_add_f16_e64 v167, v180, v167
	v_fma_f16 v180, v131, 0x3722, -v182
	v_fma_f16 v183, 0x3722, v131, v182
	s_delay_alu instid0(VALU_DEP_2) | instskip(SKIP_1) | instid1(VALU_DEP_3)
	v_add_f16_e64 v171, v180, v171
	v_mul_f16_e64 v180, 0xb836, v178
	v_add_f16_e64 v173, v183, v173
	v_mul_f16_e64 v183, 0xb836, v133
	s_delay_alu instid0(VALU_DEP_3) | instskip(SKIP_1) | instid1(VALU_DEP_3)
	v_fma_f16 v182, v128, 0xbacd, -v180
	v_fmac_f16_e64 v180, 0xbacd, v128
	v_fma_f16 v185, 0xbacd, v131, v183
	v_fma_f16 v183, v131, 0xbacd, -v183
	s_delay_alu instid0(VALU_DEP_4) | instskip(NEXT) | instid1(VALU_DEP_4)
	v_add_f16_e64 v182, v182, v190
	v_add_f16_e64 v180, v180, v188
	v_mul_f16_e64 v188, 0x3a62, v178
	s_delay_alu instid0(VALU_DEP_4)
	v_add_f16_e64 v183, v183, v192
	v_mul_f16_e64 v192, 0x3a62, v133
	v_mul_f16_e64 v178, 0x3964, v178
	;; [unrolled: 1-line block ×3, first 2 shown]
	v_fma_f16 v190, v128, 0xb8d2, -v188
	v_fmac_f16_e64 v188, 0xb8d2, v128
	v_add_f16_e64 v185, v185, v195
	v_fma_f16 v195, 0xb8d2, v131, v192
	v_fma_f16 v192, v131, 0xb8d2, -v192
	v_add_f16_e64 v190, v190, v198
	v_add_f16_e64 v188, v188, v197
	v_fma_f16 v197, v128, 0x39e9, -v178
	v_fmac_f16_e64 v178, 0x39e9, v128
	v_fma_f16 v128, v131, 0x39e9, -v133
	v_fma_f16 v198, 0x39e9, v131, v133
	v_sub_f16_e64 v133, v170, v174
	v_add_f16_e64 v131, v172, v176
	v_add_f16_e64 v50, v178, v50
	;; [unrolled: 1-line block ×4, first 2 shown]
	v_sub_f16_e64 v170, v172, v176
	v_add_f16_e64 v192, v192, v199
	v_add_f16_e64 v197, v197, v203
	;; [unrolled: 1-line block ×4, first 2 shown]
	v_mul_f16_e64 v172, 0xbbb2, v170
	s_delay_alu instid0(VALU_DEP_1) | instskip(SKIP_1) | instid1(VALU_DEP_2)
	v_fma_f16 v174, v128, 0xb461, -v172
	v_fmac_f16_e64 v172, 0xb461, v128
	v_add_f16_e64 v137, v174, v137
	v_mul_f16_e64 v174, 0xbbb2, v133
	s_delay_alu instid0(VALU_DEP_3) | instskip(NEXT) | instid1(VALU_DEP_2)
	v_add_f16_e64 v135, v172, v135
	v_fma_f16 v172, v131, 0xb461, -v174
	v_fma_f16 v176, 0xb461, v131, v174
	s_delay_alu instid0(VALU_DEP_2) | instskip(SKIP_1) | instid1(VALU_DEP_3)
	v_add_f16_e64 v139, v172, v139
	v_mul_f16_e64 v172, 0x3836, v170
	v_add_f16_e64 v141, v176, v141
	s_delay_alu instid0(VALU_DEP_2) | instskip(SKIP_1) | instid1(VALU_DEP_2)
	v_fma_f16 v174, v128, 0xbacd, -v172
	v_fmac_f16_e64 v172, 0xbacd, v128
	v_add_f16_e64 v144, v174, v144
	v_mul_f16_e64 v174, 0x3836, v133
	s_delay_alu instid0(VALU_DEP_3) | instskip(NEXT) | instid1(VALU_DEP_2)
	v_add_f16_e64 v142, v172, v142
	v_fma_f16 v172, v131, 0xbacd, -v174
	v_fma_f16 v176, 0xbacd, v131, v174
	s_delay_alu instid0(VALU_DEP_2) | instskip(SKIP_1) | instid1(VALU_DEP_3)
	v_add_f16_e64 v146, v172, v146
	v_mul_f16_e64 v172, 0x3964, v170
	v_add_f16_e64 v148, v176, v148
	s_delay_alu instid0(VALU_DEP_2) | instskip(SKIP_1) | instid1(VALU_DEP_2)
	;; [unrolled: 13-line block ×4, first 2 shown]
	v_fma_f16 v174, v128, 0xbbdd, -v172
	v_fmac_f16_e64 v172, 0xbbdd, v128
	v_add_f16_e64 v169, v174, v169
	v_mul_f16_e64 v174, 0xb1e1, v133
	s_delay_alu instid0(VALU_DEP_3) | instskip(NEXT) | instid1(VALU_DEP_2)
	v_add_f16_e64 v167, v172, v167
	v_fma_f16 v172, v131, 0xbbdd, -v174
	v_fma_f16 v176, 0xbbdd, v131, v174
	s_delay_alu instid0(VALU_DEP_2) | instskip(SKIP_1) | instid1(VALU_DEP_3)
	v_add_f16_e64 v171, v172, v171
	v_mul_f16_e64 v172, 0x3bf7, v170
	v_add_f16_e64 v173, v176, v173
	v_mul_f16_e64 v176, 0x3bf7, v133
	s_delay_alu instid0(VALU_DEP_3) | instskip(SKIP_1) | instid1(VALU_DEP_3)
	v_fma_f16 v174, v128, 0x2de8, -v172
	v_fmac_f16_e64 v172, 0x2de8, v128
	v_fma_f16 v178, 0x2de8, v131, v176
	v_fma_f16 v176, v131, 0x2de8, -v176
	s_delay_alu instid0(VALU_DEP_4) | instskip(NEXT) | instid1(VALU_DEP_4)
	v_add_f16_e64 v174, v174, v182
	v_add_f16_e64 v172, v172, v180
	v_mul_f16_e64 v180, 0xb5c8, v170
	s_delay_alu instid0(VALU_DEP_4)
	v_add_f16_e64 v176, v176, v183
	v_mul_f16_e64 v183, 0xb5c8, v133
	v_mul_f16_e64 v170, 0xba62, v170
	;; [unrolled: 1-line block ×3, first 2 shown]
	v_fma_f16 v182, v128, 0x3b76, -v180
	v_fmac_f16_e64 v180, 0x3b76, v128
	v_add_f16_e64 v178, v178, v185
	v_fma_f16 v185, 0x3b76, v131, v183
	v_fma_f16 v183, v131, 0x3b76, -v183
	v_add_f16_e64 v182, v182, v190
	v_add_f16_e64 v180, v180, v188
	v_fma_f16 v188, v128, 0xb8d2, -v170
	v_fma_f16 v190, 0xb8d2, v131, v133
	v_fmac_f16_e64 v170, 0xb8d2, v128
	v_fma_f16 v128, v131, 0xb8d2, -v133
	v_add_f16_e64 v131, v126, v168
	v_sub_f16_e64 v126, v126, v168
	v_add_f16_e64 v183, v183, v192
	v_add_f16_e64 v50, v170, v50
	v_add_f16_e64 v127, v128, v127
	v_add_f16_e64 v128, v123, v151
	v_mul_f16_e64 v133, 0xba62, v126
	v_sub_f16_e64 v123, v123, v151
	v_add_f16_e64 v188, v188, v197
	v_add_f16_e64 v185, v185, v195
	;; [unrolled: 1-line block ×3, first 2 shown]
	v_fma_f16 v151, v128, 0xb8d2, -v133
	v_fmac_f16_e64 v133, 0xb8d2, v128
	v_sub_f16_e64 v192, v116, v118
	s_delay_alu instid0(VALU_DEP_3) | instskip(SKIP_1) | instid1(VALU_DEP_4)
	v_add_f16_e64 v137, v151, v137
	v_mul_f16_e64 v151, 0xba62, v123
	v_add_f16_e64 v133, v133, v135
	s_delay_alu instid0(VALU_DEP_2) | instskip(SKIP_1) | instid1(VALU_DEP_2)
	v_fma_f16 v135, v131, 0xb8d2, -v151
	v_fma_f16 v168, 0xb8d2, v131, v151
	v_add_f16_e64 v135, v135, v139
	v_mul_f16_e64 v139, 0x3bb2, v126
	s_delay_alu instid0(VALU_DEP_3) | instskip(NEXT) | instid1(VALU_DEP_2)
	v_add_f16_e64 v141, v168, v141
	v_fma_f16 v151, v128, 0xb461, -v139
	v_fmac_f16_e64 v139, 0xb461, v128
	s_delay_alu instid0(VALU_DEP_2) | instskip(SKIP_1) | instid1(VALU_DEP_3)
	v_add_f16_e64 v144, v151, v144
	v_mul_f16_e64 v151, 0x3bb2, v123
	v_add_f16_e64 v139, v139, v142
	s_delay_alu instid0(VALU_DEP_2) | instskip(SKIP_1) | instid1(VALU_DEP_2)
	v_fma_f16 v142, v131, 0xb461, -v151
	v_fma_f16 v168, 0xb461, v131, v151
	v_add_f16_e64 v142, v142, v146
	v_mul_f16_e64 v146, 0xb5c8, v126
	s_delay_alu instid0(VALU_DEP_3) | instskip(NEXT) | instid1(VALU_DEP_2)
	v_add_f16_e64 v148, v168, v148
	v_fma_f16 v151, v128, 0x3b76, -v146
	v_fmac_f16_e64 v146, 0x3b76, v128
	s_delay_alu instid0(VALU_DEP_2) | instskip(SKIP_1) | instid1(VALU_DEP_3)
	v_add_f16_e64 v151, v151, v153
	v_mul_f16_e64 v153, 0xb5c8, v123
	v_add_f16_e64 v146, v146, v150
	s_delay_alu instid0(VALU_DEP_2) | instskip(SKIP_2) | instid1(VALU_DEP_3)
	v_fma_f16 v168, 0x3b76, v131, v153
	v_fma_f16 v150, v131, 0x3b76, -v153
	v_mul_f16_e64 v153, 0xb836, v126
	v_add_f16_e64 v157, v168, v157
	s_delay_alu instid0(VALU_DEP_3) | instskip(NEXT) | instid1(VALU_DEP_3)
	v_add_f16_e64 v150, v150, v156
	v_fma_f16 v156, v128, 0xbacd, -v153
	v_fmac_f16_e64 v153, 0xbacd, v128
	s_delay_alu instid0(VALU_DEP_2) | instskip(SKIP_1) | instid1(VALU_DEP_3)
	v_add_f16_e64 v156, v156, v161
	v_mul_f16_e64 v161, 0xb836, v123
	v_add_f16_e64 v153, v153, v159
	s_delay_alu instid0(VALU_DEP_2) | instskip(SKIP_2) | instid1(VALU_DEP_3)
	v_fma_f16 v168, 0xbacd, v131, v161
	v_fma_f16 v159, v131, 0xbacd, -v161
	v_mul_f16_e64 v161, 0x3bf7, v126
	v_add_f16_e64 v165, v168, v165
	s_delay_alu instid0(VALU_DEP_3) | instskip(NEXT) | instid1(VALU_DEP_3)
	v_add_f16_e64 v159, v159, v163
	v_fma_f16 v163, v128, 0x2de8, -v161
	v_mul_f16_e64 v168, 0x3bf7, v123
	v_fmac_f16_e64 v161, 0x2de8, v128
	s_delay_alu instid0(VALU_DEP_3) | instskip(NEXT) | instid1(VALU_DEP_3)
	v_add_f16_e64 v163, v163, v169
	v_fma_f16 v169, 0x2de8, v131, v168
	s_delay_alu instid0(VALU_DEP_3) | instskip(SKIP_2) | instid1(VALU_DEP_4)
	v_add_f16_e64 v161, v161, v167
	v_fma_f16 v167, v131, 0x2de8, -v168
	v_mul_f16_e64 v168, 0xb964, v126
	v_add_f16_e64 v169, v169, v173
	s_delay_alu instid0(VALU_DEP_3) | instskip(NEXT) | instid1(VALU_DEP_3)
	v_add_f16_e64 v167, v167, v171
	v_fma_f16 v170, v128, 0x39e9, -v168
	v_mul_f16_e64 v171, 0xb964, v123
	v_fmac_f16_e64 v168, 0x39e9, v128
	s_delay_alu instid0(VALU_DEP_3) | instskip(NEXT) | instid1(VALU_DEP_3)
	v_add_f16_e64 v170, v170, v174
	v_fma_f16 v173, 0x39e9, v131, v171
	s_delay_alu instid0(VALU_DEP_3) | instskip(SKIP_4) | instid1(VALU_DEP_4)
	v_add_f16_e64 v168, v168, v172
	v_fma_f16 v171, v131, 0x39e9, -v171
	v_mul_f16_e64 v172, 0xb1e1, v126
	v_mul_f16_e32 v126, 0x3b29, v126
	v_add_f16_e64 v173, v173, v178
	v_add_f16_e64 v171, v171, v176
	s_delay_alu instid0(VALU_DEP_4) | instskip(SKIP_3) | instid1(VALU_DEP_4)
	v_fma_f16 v174, v128, 0xbbdd, -v172
	v_mul_f16_e64 v176, 0xb1e1, v123
	v_mul_f16_e32 v123, 0x3b29, v123
	v_fmac_f16_e64 v172, 0xbbdd, v128
	v_add_f16_e64 v174, v174, v182
	s_delay_alu instid0(VALU_DEP_4) | instskip(NEXT) | instid1(VALU_DEP_4)
	v_fma_f16 v178, 0xbbdd, v131, v176
	v_fma_f16 v182, 0x3722, v131, v123
	v_fma_f16 v123, v131, 0x3722, -v123
	v_add_f16_e64 v172, v172, v180
	v_fma_f16 v180, v128, 0x3722, -v126
	v_fmac_f16_e64 v126, 0x3722, v128
	v_fma_f16 v176, v131, 0xbbdd, -v176
	v_add_f16_e32 v123, v123, v127
	v_add_f16_e32 v127, v120, v122
	v_sub_f16_e32 v120, v120, v122
	v_add_f16_e32 v50, v126, v50
	v_add_f16_e32 v126, v119, v121
	v_sub_f16_e32 v119, v119, v121
	v_add_f16_e64 v176, v176, v183
	v_mul_f16_e32 v121, 0xb836, v120
	v_add_f16_e64 v180, v180, v188
	v_add_f16_e64 v178, v178, v185
	v_mul_f16_e64 v128, 0xb836, v119
	v_add_f16_e64 v182, v182, v190
	v_fma_f16 v122, v126, 0xbacd, -v121
	v_fmac_f16_e32 v121, 0xbacd, v126
	v_add_f16_e64 v183, v116, v118
	v_fma_f16 v131, 0xbacd, v127, v128
	v_fma_f16 v128, v127, 0xbacd, -v128
	v_add_f16_e64 v122, v122, v137
	v_add_f16_e64 v121, v121, v133
	v_mul_f16_e64 v133, 0x3b29, v120
	v_mul_f16_e64 v137, 0x3b29, v119
	v_add_f16_e64 v128, v128, v135
	v_add_f16_e64 v131, v131, v141
	v_sub_f16_e64 v185, v115, v117
	v_fma_f16 v135, v126, 0x3722, -v133
	v_fmac_f16_e64 v133, 0x3722, v126
	v_fma_f16 v141, 0x3722, v127, v137
	v_fma_f16 v137, v127, 0x3722, -v137
	v_mul_f16_e64 v116, 0xb1e1, v192
	v_add_f16_e64 v135, v135, v144
	v_add_f16_e64 v133, v133, v139
	v_mul_f16_e64 v139, 0xbbf7, v120
	v_add_f16_e64 v137, v137, v142
	v_mul_f16_e64 v144, 0xbbf7, v119
	v_add_f16_e64 v141, v141, v148
	s_delay_alu instid0(VALU_DEP_4) | instskip(SKIP_1) | instid1(VALU_DEP_4)
	v_fma_f16 v142, v126, 0x2de8, -v139
	v_fmac_f16_e64 v139, 0x2de8, v126
	v_fma_f16 v148, 0x2de8, v127, v144
	v_fma_f16 v144, v127, 0x2de8, -v144
	s_delay_alu instid0(VALU_DEP_4) | instskip(NEXT) | instid1(VALU_DEP_4)
	v_add_f16_e64 v142, v142, v151
	v_add_f16_e64 v139, v139, v146
	v_mul_f16_e64 v146, 0x3a62, v120
	s_delay_alu instid0(VALU_DEP_4) | instskip(SKIP_2) | instid1(VALU_DEP_4)
	v_add_f16_e64 v144, v144, v150
	v_mul_f16_e64 v151, 0x3a62, v119
	v_add_f16_e64 v148, v148, v157
	v_fma_f16 v150, v126, 0xb8d2, -v146
	v_fmac_f16_e64 v146, 0xb8d2, v126
	s_delay_alu instid0(VALU_DEP_2) | instskip(SKIP_2) | instid1(VALU_DEP_4)
	v_add_f16_e64 v150, v150, v156
	v_fma_f16 v156, 0xb8d2, v127, v151
	v_fma_f16 v151, v127, 0xb8d2, -v151
	v_add_f16_e64 v146, v146, v153
	s_delay_alu instid0(VALU_DEP_3) | instskip(NEXT) | instid1(VALU_DEP_3)
	v_add_f16_e64 v156, v156, v165
	v_add_f16_e64 v153, v151, v159
	v_mul_f16_e64 v151, 0xb5c8, v120
	v_mul_f16_e64 v159, 0xb5c8, v119
	s_delay_alu instid0(VALU_DEP_2) | instskip(SKIP_1) | instid1(VALU_DEP_2)
	v_fma_f16 v157, v126, 0x3b76, -v151
	v_fmac_f16_e64 v151, 0x3b76, v126
	v_add_f16_e64 v157, v157, v163
	s_delay_alu instid0(VALU_DEP_2) | instskip(SKIP_2) | instid1(VALU_DEP_2)
	v_add_f16_e64 v161, v151, v161
	v_fma_f16 v151, v127, 0x3b76, -v159
	v_fma_f16 v163, 0x3b76, v127, v159
	v_add_f16_e64 v159, v151, v167
	v_mul_f16_e64 v151, 0xb1e1, v120
	v_mul_f16_e64 v167, 0xb1e1, v119
	s_delay_alu instid0(VALU_DEP_4) | instskip(NEXT) | instid1(VALU_DEP_3)
	v_add_f16_e64 v163, v163, v169
	v_fma_f16 v165, v126, 0xbbdd, -v151
	v_fmac_f16_e64 v151, 0xbbdd, v126
	s_delay_alu instid0(VALU_DEP_4) | instskip(NEXT) | instid1(VALU_DEP_3)
	v_fma_f16 v169, 0xbbdd, v127, v167
	v_add_f16_e64 v165, v165, v170
	s_delay_alu instid0(VALU_DEP_3) | instskip(SKIP_1) | instid1(VALU_DEP_4)
	v_add_f16_e64 v170, v151, v168
	v_fma_f16 v151, v127, 0xbbdd, -v167
	v_add_f16_e64 v169, v169, v173
	s_delay_alu instid0(VALU_DEP_2) | instskip(SKIP_2) | instid1(VALU_DEP_2)
	v_add_f16_e64 v167, v151, v171
	v_mul_f16_e64 v151, 0x3964, v120
	v_mul_f16_e32 v120, 0xbbb2, v120
	v_fma_f16 v168, v126, 0x39e9, -v151
	v_fmac_f16_e64 v151, 0x39e9, v126
	s_delay_alu instid0(VALU_DEP_2) | instskip(SKIP_1) | instid1(VALU_DEP_3)
	v_add_f16_e64 v171, v168, v174
	v_mul_f16_e64 v168, 0x3964, v119
	v_add_f16_e64 v172, v151, v172
	v_mul_f16_e32 v119, 0xbbb2, v119
	s_delay_alu instid0(VALU_DEP_3) | instskip(SKIP_1) | instid1(VALU_DEP_2)
	v_fma_f16 v151, v127, 0x39e9, -v168
	v_fma_f16 v173, 0x39e9, v127, v168
	v_add_f16_e64 v174, v151, v176
	v_fma_f16 v151, v126, 0xb461, -v120
	v_fmac_f16_e32 v120, 0xb461, v126
	s_delay_alu instid0(VALU_DEP_4) | instskip(SKIP_1) | instid1(VALU_DEP_4)
	v_add_f16_e64 v173, v173, v178
	v_mul_f16_e64 v126, 0xba62, v192
	v_add_f16_e64 v176, v151, v180
	v_fma_f16 v151, 0xb461, v127, v119
	v_add_f16_e64 v180, v120, v50
	v_fma_f16 v50, v127, 0xb461, -v119
	v_mul_f16_e64 v120, 0xb836, v192
	s_delay_alu instid0(VALU_DEP_4) | instskip(SKIP_1) | instid1(VALU_DEP_4)
	v_add_f16_e64 v178, v151, v182
	v_add_f16_e64 v182, v115, v117
	v_add_f16_e32 v127, v50, v123
	v_mul_f16_e64 v117, 0xb1e1, v185
	s_delay_alu instid0(VALU_DEP_3) | instskip(SKIP_1) | instid1(VALU_DEP_2)
	v_fma_f16 v50, v182, 0xbbdd, -v116
	v_fmac_f16_e64 v116, 0xbbdd, v182
	v_add_f16_e32 v115, v50, v122
	s_delay_alu instid0(VALU_DEP_2) | instskip(SKIP_3) | instid1(VALU_DEP_3)
	v_add_f16_e64 v151, v116, v121
	v_fma_f16 v116, v183, 0xbbdd, -v117
	v_fma_f16 v50, 0xbbdd, v183, v117
	v_mul_f16_e64 v121, 0xb836, v185
	v_add_f16_e64 v168, v116, v128
	v_mul_f16_e64 v116, 0x35c8, v192
	v_mul_f16_e64 v128, 0xba62, v185
	v_add_f16_e64 v50, v50, v131
	s_delay_alu instid0(VALU_DEP_3) | instskip(SKIP_1) | instid1(VALU_DEP_3)
	v_fma_f16 v117, v182, 0x3b76, -v116
	v_fmac_f16_e64 v116, 0x3b76, v182
	v_pack_b32_f16 v50, v115, v50
	s_delay_alu instid0(VALU_DEP_3) | instskip(SKIP_1) | instid1(VALU_DEP_4)
	v_add_f16_e64 v119, v117, v135
	v_mul_f16_e64 v117, 0x35c8, v185
	v_add_f16_e64 v205, v116, v133
	s_delay_alu instid0(VALU_DEP_2) | instskip(SKIP_1) | instid1(VALU_DEP_2)
	v_fma_f16 v116, v183, 0x3b76, -v117
	v_fma_f16 v118, 0x3b76, v183, v117
	v_add_f16_e64 v206, v116, v137
	v_fma_f16 v116, v182, 0xbacd, -v120
	v_fmac_f16_e64 v120, 0xbacd, v182
	s_delay_alu instid0(VALU_DEP_4) | instskip(NEXT) | instid1(VALU_DEP_3)
	v_add_f16_e64 v118, v118, v141
	v_add_f16_e64 v117, v116, v142
	s_delay_alu instid0(VALU_DEP_3) | instskip(SKIP_2) | instid1(VALU_DEP_2)
	v_add_f16_e64 v207, v120, v139
	v_fma_f16 v120, v183, 0xbacd, -v121
	v_fma_f16 v116, 0xbacd, v183, v121
	v_add_f16_e64 v208, v120, v144
	v_mul_f16_e64 v120, 0x3964, v192
	s_delay_alu instid0(VALU_DEP_3) | instskip(NEXT) | instid1(VALU_DEP_2)
	v_add_f16_e64 v116, v116, v148
	v_fma_f16 v121, v182, 0x39e9, -v120
	v_fmac_f16_e64 v120, 0x39e9, v182
	s_delay_alu instid0(VALU_DEP_3) | instskip(NEXT) | instid1(VALU_DEP_3)
	v_pack_b32_f16 v115, v117, v116
	v_add_f16_e64 v123, v121, v150
	v_mul_f16_e64 v121, 0x3964, v185
	s_delay_alu instid0(VALU_DEP_4) | instskip(NEXT) | instid1(VALU_DEP_2)
	v_add_f16_e64 v188, v120, v146
	v_fma_f16 v120, v183, 0x39e9, -v121
	v_fma_f16 v122, 0x39e9, v183, v121
	s_delay_alu instid0(VALU_DEP_2) | instskip(SKIP_2) | instid1(VALU_DEP_4)
	v_add_f16_e64 v190, v120, v153
	v_fma_f16 v120, v182, 0xb8d2, -v126
	v_fmac_f16_e64 v126, 0xb8d2, v182
	v_add_f16_e64 v122, v122, v156
	s_delay_alu instid0(VALU_DEP_3) | instskip(NEXT) | instid1(VALU_DEP_3)
	v_add_f16_e64 v121, v120, v157
	v_add_f16_e64 v209, v126, v161
	v_fma_f16 v126, v183, 0xb8d2, -v128
	v_fma_f16 v120, 0xb8d2, v183, v128
	s_delay_alu instid0(VALU_DEP_2) | instskip(SKIP_1) | instid1(VALU_DEP_3)
	v_add_f16_e64 v210, v126, v159
	v_mul_f16_e64 v126, 0x3b29, v192
	v_add_f16_e64 v120, v120, v163
	s_delay_alu instid0(VALU_DEP_2) | instskip(SKIP_1) | instid1(VALU_DEP_2)
	v_fma_f16 v128, v182, 0x3722, -v126
	v_fmac_f16_e64 v126, 0x3722, v182
	v_add_f16_e64 v197, v128, v165
	v_mul_f16_e64 v128, 0x3b29, v185
	s_delay_alu instid0(VALU_DEP_3) | instskip(NEXT) | instid1(VALU_DEP_2)
	v_add_f16_e64 v211, v126, v170
	v_fma_f16 v131, 0x3722, v183, v128
	v_fma_f16 v126, v183, 0x3722, -v128
	v_mul_f16_e64 v128, 0xbbb2, v192
	s_delay_alu instid0(VALU_DEP_3) | instskip(NEXT) | instid1(VALU_DEP_3)
	v_add_f16_e64 v198, v131, v169
	v_add_f16_e64 v212, v126, v167
	s_delay_alu instid0(VALU_DEP_3) | instskip(SKIP_2) | instid1(VALU_DEP_3)
	v_fma_f16 v126, v182, 0xb461, -v128
	v_mul_f16_e64 v131, 0xbbb2, v185
	v_fmac_f16_e64 v128, 0xb461, v182
	v_add_f16_e64 v199, v126, v171
	s_delay_alu instid0(VALU_DEP_3) | instskip(NEXT) | instid1(VALU_DEP_3)
	v_fma_f16 v126, 0xb461, v183, v131
	v_add_f16_e64 v213, v128, v172
	v_fma_f16 v128, v183, 0xb461, -v131
	s_delay_alu instid0(VALU_DEP_3) | instskip(NEXT) | instid1(VALU_DEP_2)
	v_add_f16_e64 v126, v126, v173
	v_add_f16_e64 v214, v128, v174
	v_mul_f16_e64 v128, 0x3bf7, v192
	s_delay_alu instid0(VALU_DEP_1) | instskip(SKIP_1) | instid1(VALU_DEP_2)
	v_fma_f16 v131, v182, 0x2de8, -v128
	v_fmac_f16_e64 v128, 0x2de8, v182
	v_add_f16_e64 v215, v131, v176
	v_mul_f16_e64 v131, 0x3bf7, v185
	s_delay_alu instid0(VALU_DEP_3) | instskip(NEXT) | instid1(VALU_DEP_2)
	v_add_f16_e64 v192, v128, v180
	v_fma_f16 v128, v183, 0x2de8, -v131
	v_fma_f16 v133, 0x2de8, v183, v131
	v_sub_f16_e64 v131, v160, v164
	s_delay_alu instid0(VALU_DEP_3)
	v_add_f16_e64 v195, v128, v127
	v_add_f16_e64 v127, v51, v160
	;; [unrolled: 1-line block ×4, first 2 shown]
	v_sub_f16_e64 v133, v162, v166
	v_mul_f16_e64 v139, 0xb5c8, v131
	v_add_f16_e64 v127, v127, v152
	v_add_f16_e64 v128, v128, v154
	v_mul_f16_e64 v146, 0xb964, v131
	v_mul_f16_e64 v135, 0xb5c8, v133
	v_mul_f16_e64 v142, 0xb964, v133
	v_add_f16_e64 v127, v127, v140
	v_add_f16_e64 v128, v128, v143
	v_mul_f16_e64 v150, 0xbb29, v133
	v_mul_f16_e64 v156, 0xbb29, v131
	;; [unrolled: 5-line block ×3, first 2 shown]
	v_mul_f16_e64 v165, 0xbbb2, v131
	v_add_f16_e32 v127, v127, v89
	v_add_f16_e64 v128, v128, v90
	v_mul_f16_e64 v167, 0xba62, v133
	v_mul_f16_e64 v171, 0xba62, v131
	v_mul_f16_e64 v174, 0xb836, v133
	v_add_f16_e32 v127, v127, v85
	v_add_f16_e64 v128, v128, v86
	v_mul_f16_e64 v178, 0xb836, v131
	v_mul_f16_e64 v133, 0xb1e1, v133
	;; [unrolled: 1-line block ×3, first 2 shown]
	v_add_f16_e32 v127, v127, v81
	v_add_f16_e64 v128, v128, v82
	s_delay_alu instid0(VALU_DEP_2) | instskip(NEXT) | instid1(VALU_DEP_2)
	v_add_f16_e32 v127, v127, v77
	v_add_f16_e64 v128, v128, v78
	s_delay_alu instid0(VALU_DEP_2) | instskip(NEXT) | instid1(VALU_DEP_2)
	;; [unrolled: 3-line block ×6, first 2 shown]
	v_add_f16_e64 v127, v127, v136
	v_add_f16_e64 v128, v128, v138
	s_delay_alu instid0(VALU_DEP_2) | instskip(NEXT) | instid1(VALU_DEP_2)
	v_add_f16_e64 v127, v127, v145
	v_add_f16_e64 v128, v128, v147
	s_delay_alu instid0(VALU_DEP_2) | instskip(NEXT) | instid1(VALU_DEP_2)
	v_add_f16_e64 v127, v127, v155
	v_add_f16_e64 v128, v128, v158
	s_delay_alu instid0(VALU_DEP_2) | instskip(NEXT) | instid1(VALU_DEP_2)
	v_add_f16_e64 v170, v127, v164
	v_add_f16_e64 v172, v128, v166
	;; [unrolled: 1-line block ×4, first 2 shown]
	s_delay_alu instid0(VALU_DEP_2) | instskip(NEXT) | instid1(VALU_DEP_2)
	v_fma_f16 v137, v127, 0x3b76, -v135
	v_fma_f16 v141, 0x3b76, v128, v139
	v_fmac_f16_e64 v135, 0x3b76, v127
	v_fma_f16 v139, v128, 0x3b76, -v139
	v_fma_f16 v144, v127, 0x39e9, -v142
	v_fma_f16 v148, 0x39e9, v128, v146
	v_fmac_f16_e64 v142, 0x39e9, v127
	v_fma_f16 v146, v128, 0x39e9, -v146
	;; [unrolled: 4-line block ×8, first 2 shown]
	v_add_f16_e64 v141, v134, v141
	v_add_f16_e64 v139, v134, v139
	;; [unrolled: 1-line block ×16, first 2 shown]
	v_sub_f16_e64 v134, v154, v158
	v_add_f16_e64 v137, v51, v137
	v_add_f16_e64 v135, v51, v135
	;; [unrolled: 1-line block ×17, first 2 shown]
	v_sub_f16_e64 v133, v152, v155
	v_mul_f16_e64 v152, 0xb964, v134
	v_add_f16_e64 v131, v154, v158
	s_delay_alu instid0(VALU_DEP_2) | instskip(SKIP_1) | instid1(VALU_DEP_2)
	v_fma_f16 v154, v128, 0x39e9, -v152
	v_fmac_f16_e64 v152, 0x39e9, v128
	v_add_f16_e64 v137, v154, v137
	v_mul_f16_e64 v154, 0xb964, v133
	s_delay_alu instid0(VALU_DEP_3) | instskip(NEXT) | instid1(VALU_DEP_2)
	v_add_f16_e64 v135, v152, v135
	v_fma_f16 v152, v131, 0x39e9, -v154
	v_fma_f16 v155, 0x39e9, v131, v154
	s_delay_alu instid0(VALU_DEP_2) | instskip(SKIP_1) | instid1(VALU_DEP_3)
	v_add_f16_e64 v139, v152, v139
	v_mul_f16_e64 v152, 0xbbf7, v134
	v_add_f16_e64 v141, v155, v141
	s_delay_alu instid0(VALU_DEP_2) | instskip(SKIP_1) | instid1(VALU_DEP_2)
	v_fma_f16 v154, v128, 0x2de8, -v152
	v_fmac_f16_e64 v152, 0x2de8, v128
	v_add_f16_e64 v144, v154, v144
	v_mul_f16_e64 v154, 0xbbf7, v133
	s_delay_alu instid0(VALU_DEP_3) | instskip(NEXT) | instid1(VALU_DEP_2)
	v_add_f16_e64 v142, v152, v142
	v_fma_f16 v152, v131, 0x2de8, -v154
	v_fma_f16 v155, 0x2de8, v131, v154
	s_delay_alu instid0(VALU_DEP_2) | instskip(SKIP_1) | instid1(VALU_DEP_3)
	v_add_f16_e64 v146, v152, v146
	v_mul_f16_e64 v152, 0xba62, v134
	v_add_f16_e64 v148, v155, v148
	s_delay_alu instid0(VALU_DEP_2) | instskip(SKIP_1) | instid1(VALU_DEP_2)
	v_fma_f16 v154, v128, 0xb8d2, -v152
	v_fmac_f16_e64 v152, 0xb8d2, v128
	v_add_f16_e64 v153, v154, v153
	v_mul_f16_e64 v154, 0xba62, v133
	s_delay_alu instid0(VALU_DEP_3) | instskip(NEXT) | instid1(VALU_DEP_2)
	v_add_f16_e64 v150, v152, v150
	v_fma_f16 v155, 0xb8d2, v131, v154
	v_fma_f16 v152, v131, 0xb8d2, -v154
	v_mul_f16_e64 v154, 0xb1e1, v134
	s_delay_alu instid0(VALU_DEP_3) | instskip(NEXT) | instid1(VALU_DEP_3)
	v_add_f16_e64 v155, v155, v157
	v_add_f16_e64 v152, v152, v156
	s_delay_alu instid0(VALU_DEP_3) | instskip(SKIP_2) | instid1(VALU_DEP_3)
	v_fma_f16 v156, v128, 0xbbdd, -v154
	v_fmac_f16_e64 v154, 0xbbdd, v128
	v_mul_f16_e64 v157, 0xb1e1, v133
	v_add_f16_e64 v156, v156, v160
	s_delay_alu instid0(VALU_DEP_3) | instskip(SKIP_1) | instid1(VALU_DEP_4)
	v_add_f16_e64 v154, v154, v159
	v_mul_f16_e64 v159, 0x3836, v134
	v_fma_f16 v158, 0xbbdd, v131, v157
	v_fma_f16 v157, v131, 0xbbdd, -v157
	s_delay_alu instid0(VALU_DEP_3) | instskip(SKIP_1) | instid1(VALU_DEP_3)
	v_fma_f16 v160, v128, 0xbacd, -v159
	v_fmac_f16_e64 v159, 0xbacd, v128
	v_add_f16_e64 v157, v157, v161
	v_mul_f16_e64 v161, 0x3836, v133
	v_add_f16_e64 v158, v158, v162
	v_add_f16_e64 v160, v160, v164
	;; [unrolled: 1-line block ×3, first 2 shown]
	v_mul_f16_e64 v163, 0x3bb2, v134
	v_fma_f16 v162, 0xbacd, v131, v161
	v_fma_f16 v161, v131, 0xbacd, -v161
	s_delay_alu instid0(VALU_DEP_3) | instskip(SKIP_1) | instid1(VALU_DEP_3)
	v_fma_f16 v164, v128, 0xb461, -v163
	v_fmac_f16_e64 v163, 0xb461, v128
	v_add_f16_e64 v161, v161, v165
	v_mul_f16_e64 v165, 0x3bb2, v133
	v_add_f16_e64 v162, v162, v166
	v_add_f16_e64 v164, v164, v169
	;; [unrolled: 1-line block ×3, first 2 shown]
	v_mul_f16_e64 v167, 0x3b29, v134
	v_fma_f16 v166, 0xb461, v131, v165
	v_fma_f16 v165, v131, 0xb461, -v165
	v_mul_f16_e64 v134, 0x35c8, v134
	s_delay_alu instid0(VALU_DEP_4) | instskip(SKIP_1) | instid1(VALU_DEP_4)
	v_fma_f16 v169, v128, 0x3722, -v167
	v_fmac_f16_e64 v167, 0x3722, v128
	v_add_f16_e64 v165, v165, v171
	v_mul_f16_e64 v171, 0x3b29, v133
	v_mul_f16_e64 v133, 0x35c8, v133
	v_add_f16_e64 v169, v169, v176
	v_add_f16_e64 v167, v167, v174
	v_fma_f16 v174, v128, 0x3b76, -v134
	v_fmac_f16_e64 v134, 0x3b76, v128
	v_fma_f16 v128, v131, 0x3b76, -v133
	v_fma_f16 v176, 0x3b76, v131, v133
	v_sub_f16_e64 v133, v140, v145
	v_add_f16_e64 v166, v166, v173
	v_add_f16_e64 v51, v134, v51
	v_sub_f16_e64 v134, v143, v147
	v_add_f16_e64 v127, v128, v127
	v_add_f16_e64 v128, v140, v145
	v_fma_f16 v173, 0x3722, v131, v171
	v_fma_f16 v171, v131, 0x3722, -v171
	v_mul_f16_e64 v140, 0xbb29, v134
	v_add_f16_e64 v131, v143, v147
	v_mul_f16_e64 v147, 0x31e1, v133
	v_add_f16_e64 v176, v176, v183
	v_add_f16_e64 v171, v171, v178
	v_fma_f16 v143, v128, 0x3722, -v140
	v_fmac_f16_e64 v140, 0x3722, v128
	v_add_f16_e64 v173, v173, v180
	v_add_f16_e64 v174, v174, v182
	s_delay_alu instid0(VALU_DEP_4) | instskip(SKIP_2) | instid1(VALU_DEP_2)
	v_add_f16_e64 v137, v143, v137
	v_mul_f16_e64 v143, 0xbb29, v133
	v_add_f16_e64 v135, v140, v135
	v_fma_f16 v140, v131, 0x3722, -v143
	v_fma_f16 v145, 0x3722, v131, v143
	s_delay_alu instid0(VALU_DEP_2) | instskip(SKIP_1) | instid1(VALU_DEP_3)
	v_add_f16_e64 v139, v140, v139
	v_mul_f16_e64 v140, 0xba62, v134
	v_add_f16_e64 v141, v145, v141
	s_delay_alu instid0(VALU_DEP_2) | instskip(SKIP_1) | instid1(VALU_DEP_2)
	v_fma_f16 v143, v128, 0xb8d2, -v140
	v_fmac_f16_e64 v140, 0xb8d2, v128
	v_add_f16_e64 v143, v143, v144
	v_mul_f16_e64 v144, 0xba62, v133
	s_delay_alu instid0(VALU_DEP_3) | instskip(NEXT) | instid1(VALU_DEP_2)
	v_add_f16_e64 v140, v140, v142
	v_fma_f16 v145, 0xb8d2, v131, v144
	v_fma_f16 v142, v131, 0xb8d2, -v144
	v_mul_f16_e64 v144, 0x31e1, v134
	s_delay_alu instid0(VALU_DEP_3) | instskip(NEXT) | instid1(VALU_DEP_3)
	v_add_f16_e64 v145, v145, v148
	v_add_f16_e64 v142, v142, v146
	s_delay_alu instid0(VALU_DEP_3) | instskip(SKIP_3) | instid1(VALU_DEP_4)
	v_fma_f16 v146, v128, 0xbbdd, -v144
	v_fmac_f16_e64 v144, 0xbbdd, v128
	v_fma_f16 v148, 0xbbdd, v131, v147
	v_fma_f16 v147, v131, 0xbbdd, -v147
	v_add_f16_e64 v146, v146, v153
	s_delay_alu instid0(VALU_DEP_4) | instskip(SKIP_1) | instid1(VALU_DEP_4)
	v_add_f16_e64 v144, v144, v150
	v_mul_f16_e64 v150, 0x3bb2, v134
	v_add_f16_e64 v147, v147, v152
	v_mul_f16_e64 v153, 0x3bb2, v133
	v_add_f16_e64 v148, v148, v155
	s_delay_alu instid0(VALU_DEP_4) | instskip(SKIP_1) | instid1(VALU_DEP_4)
	v_fma_f16 v152, v128, 0xb461, -v150
	v_fmac_f16_e64 v150, 0xb461, v128
	v_fma_f16 v155, 0xb461, v131, v153
	v_fma_f16 v153, v131, 0xb461, -v153
	s_delay_alu instid0(VALU_DEP_4) | instskip(NEXT) | instid1(VALU_DEP_4)
	v_add_f16_e64 v152, v152, v156
	v_add_f16_e64 v150, v150, v154
	v_mul_f16_e64 v154, 0x3964, v134
	s_delay_alu instid0(VALU_DEP_4) | instskip(SKIP_2) | instid1(VALU_DEP_4)
	v_add_f16_e64 v153, v153, v157
	v_mul_f16_e64 v157, 0x3964, v133
	v_add_f16_e64 v155, v155, v158
	v_fma_f16 v156, v128, 0x39e9, -v154
	v_fmac_f16_e64 v154, 0x39e9, v128
	s_delay_alu instid0(VALU_DEP_4) | instskip(SKIP_1) | instid1(VALU_DEP_4)
	v_fma_f16 v158, 0x39e9, v131, v157
	v_fma_f16 v157, v131, 0x39e9, -v157
	v_add_f16_e64 v156, v156, v160
	s_delay_alu instid0(VALU_DEP_4) | instskip(SKIP_1) | instid1(VALU_DEP_4)
	v_add_f16_e64 v154, v154, v159
	v_mul_f16_e64 v159, 0xb5c8, v134
	v_add_f16_e64 v157, v157, v161
	v_mul_f16_e64 v161, 0xb5c8, v133
	v_add_f16_e64 v158, v158, v162
	s_delay_alu instid0(VALU_DEP_4) | instskip(SKIP_1) | instid1(VALU_DEP_4)
	v_fma_f16 v160, v128, 0x3b76, -v159
	v_fmac_f16_e64 v159, 0x3b76, v128
	v_fma_f16 v162, 0x3b76, v131, v161
	v_fma_f16 v161, v131, 0x3b76, -v161
	s_delay_alu instid0(VALU_DEP_4) | instskip(NEXT) | instid1(VALU_DEP_4)
	v_add_f16_e64 v160, v160, v164
	v_add_f16_e64 v159, v159, v163
	v_mul_f16_e64 v163, 0xbbf7, v134
	s_delay_alu instid0(VALU_DEP_4)
	v_add_f16_e64 v161, v161, v165
	v_mul_f16_e64 v165, 0xbbf7, v133
	v_mul_f16_e64 v134, 0xb836, v134
	;; [unrolled: 1-line block ×3, first 2 shown]
	v_fma_f16 v164, v128, 0x2de8, -v163
	v_fmac_f16_e64 v163, 0x2de8, v128
	v_add_f16_e64 v162, v162, v166
	v_fma_f16 v166, 0x2de8, v131, v165
	v_fma_f16 v165, v131, 0x2de8, -v165
	v_add_f16_e64 v164, v164, v169
	v_add_f16_e64 v163, v163, v167
	v_fma_f16 v167, v128, 0xbacd, -v134
	v_fma_f16 v169, 0xbacd, v131, v133
	v_fmac_f16_e64 v134, 0xbacd, v128
	v_fma_f16 v128, v131, 0xbacd, -v133
	v_add_f16_e64 v131, v132, v138
	v_sub_f16_e64 v132, v132, v138
	v_add_f16_e64 v169, v169, v176
	v_add_f16_e64 v51, v134, v51
	;; [unrolled: 1-line block ×4, first 2 shown]
	v_sub_f16_e64 v129, v129, v136
	v_mul_f16_e64 v133, 0xbbf7, v132
	v_add_f16_e64 v165, v165, v171
	v_add_f16_e64 v166, v166, v173
	;; [unrolled: 1-line block ×3, first 2 shown]
	v_mul_f16_e64 v136, 0xbbf7, v129
	v_fma_f16 v134, v128, 0x2de8, -v133
	v_fmac_f16_e64 v133, 0x2de8, v128
	s_delay_alu instid0(VALU_DEP_2) | instskip(NEXT) | instid1(VALU_DEP_4)
	v_add_f16_e64 v134, v134, v137
	v_fma_f16 v137, 0x2de8, v131, v136
	s_delay_alu instid0(VALU_DEP_3) | instskip(SKIP_2) | instid1(VALU_DEP_4)
	v_add_f16_e64 v133, v133, v135
	v_fma_f16 v135, v131, 0x2de8, -v136
	v_mul_f16_e64 v136, 0xb1e1, v132
	v_add_f16_e64 v137, v137, v141
	s_delay_alu instid0(VALU_DEP_3) | instskip(NEXT) | instid1(VALU_DEP_3)
	v_add_f16_e64 v135, v135, v139
	v_fma_f16 v138, v128, 0xbbdd, -v136
	v_mul_f16_e64 v139, 0xb1e1, v129
	v_fmac_f16_e64 v136, 0xbbdd, v128
	s_delay_alu instid0(VALU_DEP_3) | instskip(NEXT) | instid1(VALU_DEP_3)
	v_add_f16_e64 v138, v138, v143
	v_fma_f16 v141, 0xbbdd, v131, v139
	s_delay_alu instid0(VALU_DEP_3) | instskip(SKIP_4) | instid1(VALU_DEP_4)
	v_add_f16_e64 v136, v136, v140
	v_fma_f16 v139, v131, 0xbbdd, -v139
	v_mul_f16_e64 v140, 0x3bb2, v132
	v_mul_f16_e64 v143, 0x3bb2, v129
	v_add_f16_e64 v141, v141, v145
	v_add_f16_e64 v139, v139, v142
	s_delay_alu instid0(VALU_DEP_4) | instskip(SKIP_3) | instid1(VALU_DEP_4)
	v_fma_f16 v142, v128, 0xb461, -v140
	v_fmac_f16_e64 v140, 0xb461, v128
	v_fma_f16 v145, 0xb461, v131, v143
	v_fma_f16 v143, v131, 0xb461, -v143
	v_add_f16_e64 v142, v142, v146
	s_delay_alu instid0(VALU_DEP_4) | instskip(SKIP_1) | instid1(VALU_DEP_4)
	v_add_f16_e64 v140, v140, v144
	v_mul_f16_e64 v144, 0x35c8, v132
	v_add_f16_e64 v143, v143, v147
	v_mul_f16_e64 v147, 0x35c8, v129
	v_add_f16_e64 v145, v145, v148
	s_delay_alu instid0(VALU_DEP_4) | instskip(SKIP_1) | instid1(VALU_DEP_4)
	v_fma_f16 v146, v128, 0x3b76, -v144
	v_fmac_f16_e64 v144, 0x3b76, v128
	v_fma_f16 v148, 0x3b76, v131, v147
	v_fma_f16 v147, v131, 0x3b76, -v147
	s_delay_alu instid0(VALU_DEP_4) | instskip(NEXT) | instid1(VALU_DEP_4)
	v_add_f16_e64 v146, v146, v152
	v_add_f16_e64 v144, v144, v150
	v_mul_f16_e64 v150, 0xbb29, v132
	s_delay_alu instid0(VALU_DEP_4) | instskip(SKIP_2) | instid1(VALU_DEP_4)
	v_add_f16_e64 v147, v147, v153
	v_mul_f16_e64 v153, 0xbb29, v129
	v_add_f16_e64 v148, v148, v155
	v_fma_f16 v152, v128, 0x3722, -v150
	v_fmac_f16_e64 v150, 0x3722, v128
	s_delay_alu instid0(VALU_DEP_4) | instskip(SKIP_1) | instid1(VALU_DEP_4)
	v_fma_f16 v155, 0x3722, v131, v153
	v_fma_f16 v153, v131, 0x3722, -v153
	v_add_f16_e64 v152, v152, v156
	s_delay_alu instid0(VALU_DEP_4) | instskip(SKIP_1) | instid1(VALU_DEP_4)
	v_add_f16_e64 v150, v150, v154
	v_mul_f16_e64 v154, 0xb836, v132
	v_add_f16_e64 v153, v153, v157
	v_mul_f16_e64 v157, 0xb836, v129
	v_add_f16_e64 v155, v155, v158
	s_delay_alu instid0(VALU_DEP_4) | instskip(SKIP_1) | instid1(VALU_DEP_4)
	v_fma_f16 v156, v128, 0xbacd, -v154
	v_fmac_f16_e64 v154, 0xbacd, v128
	v_fma_f16 v158, 0xbacd, v131, v157
	v_fma_f16 v157, v131, 0xbacd, -v157
	s_delay_alu instid0(VALU_DEP_4) | instskip(NEXT) | instid1(VALU_DEP_4)
	v_add_f16_e64 v156, v156, v160
	v_add_f16_e64 v154, v154, v159
	v_mul_f16_e64 v159, 0x3a62, v132
	s_delay_alu instid0(VALU_DEP_4)
	v_add_f16_e64 v157, v157, v161
	v_mul_f16_e64 v161, 0x3a62, v129
	v_mul_f16_e64 v132, 0x3964, v132
	;; [unrolled: 1-line block ×3, first 2 shown]
	v_fma_f16 v160, v128, 0xb8d2, -v159
	v_fmac_f16_e64 v159, 0xb8d2, v128
	v_add_f16_e64 v158, v158, v162
	v_fma_f16 v162, 0xb8d2, v131, v161
	v_fma_f16 v161, v131, 0xb8d2, -v161
	v_add_f16_e64 v160, v160, v164
	v_add_f16_e64 v159, v159, v163
	v_fma_f16 v163, v128, 0x39e9, -v132
	v_fma_f16 v164, 0x39e9, v131, v129
	v_fmac_f16_e64 v132, 0x39e9, v128
	v_fma_f16 v128, v131, 0x39e9, -v129
	v_add_f16_e64 v129, v90, v92
	v_sub_f16_e32 v90, v90, v92
	v_add_f16_e64 v164, v164, v169
	v_add_f16_e64 v51, v132, v51
	;; [unrolled: 1-line block ×4, first 2 shown]
	v_sub_f16_e32 v89, v89, v91
	v_mul_f16_e32 v91, 0xbbb2, v90
	v_add_f16_e64 v163, v163, v167
	v_add_f16_e64 v162, v162, v166
	v_add_f16_e64 v161, v161, v165
	v_mul_f16_e64 v131, 0xbbb2, v89
	v_fma_f16 v92, v128, 0xb461, -v91
	v_fmac_f16_e64 v91, 0xb461, v128
	s_delay_alu instid0(VALU_DEP_3) | instskip(SKIP_1) | instid1(VALU_DEP_3)
	v_fma_f16 v132, 0xb461, v129, v131
	v_fma_f16 v131, v129, 0xb461, -v131
	v_add_f16_e64 v91, v91, v133
	v_mul_f16_e64 v133, 0x3836, v90
	v_add_f16_e64 v92, v92, v134
	v_add_f16_e64 v132, v132, v137
	v_add_f16_e64 v131, v131, v135
	v_mul_f16_e64 v135, 0x3836, v89
	v_fma_f16 v134, v128, 0xbacd, -v133
	v_fmac_f16_e64 v133, 0xbacd, v128
	s_delay_alu instid0(VALU_DEP_3) | instskip(SKIP_1) | instid1(VALU_DEP_3)
	v_fma_f16 v137, 0xbacd, v129, v135
	v_fma_f16 v135, v129, 0xbacd, -v135
	v_add_f16_e64 v133, v133, v136
	v_mul_f16_e64 v136, 0x3964, v90
	;; [unrolled: 11-line block ×6, first 2 shown]
	v_add_f16_e64 v152, v152, v156
	v_mul_f16_e32 v90, 0xba62, v90
	v_add_f16_e64 v153, v153, v157
	v_mul_f16_e64 v157, 0xb5c8, v89
	v_fma_f16 v156, v128, 0x3b76, -v154
	v_mul_f16_e32 v89, 0xba62, v89
	v_fmac_f16_e64 v154, 0x3b76, v128
	v_add_f16_e64 v155, v155, v158
	v_fma_f16 v158, 0x3b76, v129, v157
	v_add_f16_e64 v156, v156, v160
	v_fma_f16 v160, 0xb8d2, v129, v89
	v_fma_f16 v89, v129, 0xb8d2, -v89
	v_add_f16_e64 v154, v154, v159
	v_fma_f16 v159, v128, 0xb8d2, -v90
	v_fmac_f16_e64 v90, 0xb8d2, v128
	v_fma_f16 v157, v129, 0x3b76, -v157
	v_add_f16_e32 v89, v89, v127
	v_add_f16_e32 v127, v86, v88
	v_sub_f16_e32 v86, v86, v88
	v_add_f16_e32 v51, v90, v51
	v_add_f16_e32 v90, v85, v87
	v_sub_f16_e32 v85, v85, v87
	v_add_f16_e64 v160, v160, v164
	v_mul_f16_e32 v87, 0xba62, v86
	v_add_f16_e64 v159, v159, v163
	v_add_f16_e64 v158, v158, v162
	v_add_f16_e64 v157, v157, v161
	s_delay_alu instid0(VALU_DEP_4) | instskip(SKIP_1) | instid1(VALU_DEP_2)
	v_fma_f16 v88, v90, 0xb8d2, -v87
	v_fmac_f16_e32 v87, 0xb8d2, v90
	v_add_f16_e32 v88, v88, v92
	v_mul_f16_e32 v92, 0xba62, v85
	s_delay_alu instid0(VALU_DEP_3) | instskip(NEXT) | instid1(VALU_DEP_2)
	v_add_f16_e32 v87, v87, v91
	v_fma_f16 v128, 0xb8d2, v127, v92
	v_fma_f16 v91, v127, 0xb8d2, -v92
	v_mul_f16_e32 v92, 0x3bb2, v86
	s_delay_alu instid0(VALU_DEP_3) | instskip(NEXT) | instid1(VALU_DEP_3)
	v_add_f16_e64 v128, v128, v132
	v_add_f16_e64 v91, v91, v131
	s_delay_alu instid0(VALU_DEP_3) | instskip(SKIP_2) | instid1(VALU_DEP_3)
	v_fma_f16 v129, v90, 0xb461, -v92
	v_mul_f16_e64 v131, 0x3bb2, v85
	v_fmac_f16_e32 v92, 0xb461, v90
	v_add_f16_e64 v129, v129, v134
	s_delay_alu instid0(VALU_DEP_3) | instskip(NEXT) | instid1(VALU_DEP_3)
	v_fma_f16 v132, 0xb461, v127, v131
	v_add_f16_e64 v92, v92, v133
	v_fma_f16 v131, v127, 0xb461, -v131
	v_mul_f16_e64 v133, 0xb5c8, v86
	s_delay_alu instid0(VALU_DEP_4) | instskip(NEXT) | instid1(VALU_DEP_3)
	v_add_f16_e64 v132, v132, v137
	v_add_f16_e64 v131, v131, v135
	s_delay_alu instid0(VALU_DEP_3) | instskip(SKIP_2) | instid1(VALU_DEP_3)
	v_fma_f16 v134, v90, 0x3b76, -v133
	v_mul_f16_e64 v135, 0xb5c8, v85
	v_fmac_f16_e64 v133, 0x3b76, v90
	v_add_f16_e64 v134, v134, v138
	s_delay_alu instid0(VALU_DEP_3) | instskip(NEXT) | instid1(VALU_DEP_3)
	v_fma_f16 v137, 0x3b76, v127, v135
	v_add_f16_e64 v133, v133, v136
	v_fma_f16 v135, v127, 0x3b76, -v135
	v_mul_f16_e64 v136, 0xb836, v86
	s_delay_alu instid0(VALU_DEP_4) | instskip(NEXT) | instid1(VALU_DEP_3)
	v_add_f16_e64 v137, v137, v141
	v_add_f16_e64 v135, v135, v139
	s_delay_alu instid0(VALU_DEP_3) | instskip(SKIP_2) | instid1(VALU_DEP_3)
	v_fma_f16 v138, v90, 0xbacd, -v136
	v_mul_f16_e64 v139, 0xb836, v85
	v_fmac_f16_e64 v136, 0xbacd, v90
	;; [unrolled: 13-line block ×4, first 2 shown]
	v_add_f16_e64 v146, v146, v152
	s_delay_alu instid0(VALU_DEP_3) | instskip(NEXT) | instid1(VALU_DEP_3)
	v_fma_f16 v148, 0x39e9, v127, v147
	v_add_f16_e64 v144, v144, v150
	v_fma_f16 v147, v127, 0x39e9, -v147
	v_mul_f16_e64 v150, 0xb1e1, v86
	v_mul_f16_e32 v86, 0x3b29, v86
	v_add_f16_e64 v148, v148, v155
	s_delay_alu instid0(VALU_DEP_4) | instskip(NEXT) | instid1(VALU_DEP_4)
	v_add_f16_e64 v147, v147, v153
	v_fma_f16 v152, v90, 0xbbdd, -v150
	v_mul_f16_e64 v153, 0xb1e1, v85
	v_mul_f16_e32 v85, 0x3b29, v85
	v_fmac_f16_e64 v150, 0xbbdd, v90
	s_delay_alu instid0(VALU_DEP_4) | instskip(NEXT) | instid1(VALU_DEP_4)
	v_add_f16_e64 v152, v152, v156
	v_fma_f16 v155, 0xbbdd, v127, v153
	s_delay_alu instid0(VALU_DEP_4)
	v_fma_f16 v156, 0x3722, v127, v85
	v_fma_f16 v85, v127, 0x3722, -v85
	v_add_f16_e64 v150, v150, v154
	v_fma_f16 v154, v90, 0x3722, -v86
	v_fmac_f16_e32 v86, 0x3722, v90
	v_fma_f16 v153, v127, 0xbbdd, -v153
	v_add_f16_e32 v85, v85, v89
	v_add_f16_e32 v89, v82, v84
	v_sub_f16_e32 v82, v82, v84
	v_add_f16_e32 v51, v86, v51
	v_add_f16_e32 v86, v81, v83
	v_sub_f16_e32 v81, v81, v83
	v_add_f16_e64 v156, v156, v160
	v_mul_f16_e32 v83, 0xb836, v82
	v_add_f16_e64 v154, v154, v159
	v_add_f16_e64 v155, v155, v158
	v_mul_f16_e32 v127, 0x3b29, v81
	v_add_f16_e64 v153, v153, v157
	v_fma_f16 v84, v86, 0xbacd, -v83
	v_fmac_f16_e32 v83, 0xbacd, v86
	s_delay_alu instid0(VALU_DEP_2) | instskip(SKIP_1) | instid1(VALU_DEP_3)
	v_add_f16_e32 v84, v84, v88
	v_mul_f16_e32 v88, 0xb836, v81
	v_add_f16_e32 v83, v83, v87
	s_delay_alu instid0(VALU_DEP_2) | instskip(SKIP_2) | instid1(VALU_DEP_3)
	v_fmamk_f16 v90, v89, 0xbacd, v88
	v_fma_f16 v87, v89, 0xbacd, -v88
	v_mul_f16_e32 v88, 0x3b29, v82
	v_add_f16_e64 v90, v90, v128
	s_delay_alu instid0(VALU_DEP_3) | instskip(NEXT) | instid1(VALU_DEP_3)
	v_add_f16_e32 v87, v87, v91
	v_fma_f16 v91, v86, 0x3722, -v88
	v_fmac_f16_e32 v88, 0x3722, v86
	v_fma_f16 v128, 0x3722, v89, v127
	s_delay_alu instid0(VALU_DEP_3) | instskip(NEXT) | instid1(VALU_DEP_3)
	v_add_f16_e64 v91, v91, v129
	v_add_f16_e32 v88, v88, v92
	v_fma_f16 v92, v89, 0x3722, -v127
	v_mul_f16_e32 v127, 0xbbf7, v82
	v_add_f16_e64 v128, v128, v132
	s_delay_alu instid0(VALU_DEP_3) | instskip(NEXT) | instid1(VALU_DEP_3)
	v_add_f16_e64 v92, v92, v131
	v_fma_f16 v129, v86, 0x2de8, -v127
	v_fmac_f16_e32 v127, 0x2de8, v86
	v_mul_f16_e64 v131, 0xbbf7, v81
	s_delay_alu instid0(VALU_DEP_3) | instskip(NEXT) | instid1(VALU_DEP_3)
	v_add_f16_e64 v129, v129, v134
	v_add_f16_e64 v127, v127, v133
	v_mul_f16_e64 v133, 0x3a62, v82
	s_delay_alu instid0(VALU_DEP_4) | instskip(SKIP_1) | instid1(VALU_DEP_3)
	v_fma_f16 v132, 0x2de8, v89, v131
	v_fma_f16 v131, v89, 0x2de8, -v131
	v_fma_f16 v134, v86, 0xb8d2, -v133
	v_fmac_f16_e64 v133, 0xb8d2, v86
	s_delay_alu instid0(VALU_DEP_3)
	v_add_f16_e64 v131, v131, v135
	v_mul_f16_e64 v135, 0x3a62, v81
	v_add_f16_e64 v132, v132, v137
	v_add_f16_e64 v134, v134, v138
	;; [unrolled: 1-line block ×3, first 2 shown]
	v_mul_f16_e64 v136, 0xb5c8, v82
	v_fma_f16 v137, 0xb8d2, v89, v135
	v_fma_f16 v135, v89, 0xb8d2, -v135
	s_delay_alu instid0(VALU_DEP_3) | instskip(SKIP_1) | instid1(VALU_DEP_3)
	v_fma_f16 v138, v86, 0x3b76, -v136
	v_fmac_f16_e64 v136, 0x3b76, v86
	v_add_f16_e64 v135, v135, v139
	v_mul_f16_e64 v139, 0xb5c8, v81
	v_add_f16_e64 v137, v137, v141
	v_add_f16_e64 v138, v138, v142
	;; [unrolled: 1-line block ×3, first 2 shown]
	v_mul_f16_e64 v140, 0xb1e1, v82
	v_fma_f16 v141, 0x3b76, v89, v139
	v_fma_f16 v139, v89, 0x3b76, -v139
	s_delay_alu instid0(VALU_DEP_3) | instskip(SKIP_1) | instid1(VALU_DEP_3)
	v_fma_f16 v142, v86, 0xbbdd, -v140
	v_fmac_f16_e64 v140, 0xbbdd, v86
	v_add_f16_e64 v139, v139, v143
	v_mul_f16_e64 v143, 0xb1e1, v81
	v_add_f16_e64 v141, v141, v145
	v_add_f16_e64 v142, v142, v146
	;; [unrolled: 1-line block ×3, first 2 shown]
	v_mul_f16_e64 v144, 0x3964, v82
	v_fma_f16 v145, 0xbbdd, v89, v143
	v_fma_f16 v143, v89, 0xbbdd, -v143
	v_mul_f16_e32 v82, 0xbbb2, v82
	s_delay_alu instid0(VALU_DEP_4) | instskip(SKIP_1) | instid1(VALU_DEP_4)
	v_fma_f16 v146, v86, 0x39e9, -v144
	v_fmac_f16_e64 v144, 0x39e9, v86
	v_add_f16_e64 v143, v143, v147
	v_mul_f16_e64 v147, 0x3964, v81
	v_mul_f16_e32 v81, 0xbbb2, v81
	v_add_f16_e64 v146, v146, v152
	v_add_f16_e64 v144, v144, v150
	v_fma_f16 v150, v86, 0xb461, -v82
	v_fmac_f16_e32 v82, 0xb461, v86
	v_add_f16_e32 v86, v78, v80
	v_sub_f16_e32 v78, v78, v80
	v_fma_f16 v152, 0xb461, v89, v81
	v_add_f16_e64 v145, v145, v148
	v_add_f16_e32 v82, v82, v51
	v_fma_f16 v51, v89, 0xb461, -v81
	v_fma_f16 v148, 0x39e9, v89, v147
	v_fma_f16 v147, v89, 0x39e9, -v147
	v_add_f16_e64 v150, v150, v154
	s_delay_alu instid0(VALU_DEP_4)
	v_add_f16_e32 v81, v51, v85
	v_add_f16_e32 v85, v77, v79
	v_mul_f16_e32 v51, 0xb1e1, v78
	v_sub_f16_e32 v77, v77, v79
	v_add_f16_e64 v148, v148, v155
	v_add_f16_e64 v147, v147, v153
	v_add_f16_e64 v153, v152, v156
	v_fma_f16 v79, v85, 0xbbdd, -v51
	v_fmac_f16_e32 v51, 0xbbdd, v85
	s_delay_alu instid0(VALU_DEP_2) | instskip(SKIP_1) | instid1(VALU_DEP_3)
	v_add_f16_e64 v203, v79, v84
	v_mul_f16_e32 v79, 0xb1e1, v77
	v_add_f16_e64 v169, v51, v83
	s_delay_alu instid0(VALU_DEP_2) | instskip(SKIP_1) | instid1(VALU_DEP_2)
	v_fma_f16 v51, v86, 0xbbdd, -v79
	v_fmamk_f16 v80, v86, 0xbbdd, v79
	v_add_f16_e64 v171, v51, v87
	v_mul_f16_e32 v51, 0x35c8, v78
	s_delay_alu instid0(VALU_DEP_3) | instskip(NEXT) | instid1(VALU_DEP_2)
	v_add_f16_e64 v204, v80, v90
	v_fma_f16 v79, v85, 0x3b76, -v51
	v_fmac_f16_e32 v51, 0x3b76, v85
	s_delay_alu instid0(VALU_DEP_2) | instskip(SKIP_1) | instid1(VALU_DEP_3)
	v_add_f16_e64 v182, v79, v91
	v_mul_f16_e32 v79, 0x35c8, v77
	v_add_f16_e64 v173, v51, v88
	s_delay_alu instid0(VALU_DEP_2) | instskip(SKIP_1) | instid1(VALU_DEP_2)
	v_fma_f16 v51, v86, 0x3b76, -v79
	v_fmamk_f16 v80, v86, 0x3b76, v79
	v_add_f16_e64 v216, v51, v92
	v_mul_f16_e32 v51, 0xb836, v78
	s_delay_alu instid0(VALU_DEP_3) | instskip(NEXT) | instid1(VALU_DEP_2)
	v_add_f16_e64 v183, v80, v128
	v_fma_f16 v79, v85, 0xbacd, -v51
	v_fmac_f16_e32 v51, 0xbacd, v85
	s_delay_alu instid0(VALU_DEP_2) | instskip(SKIP_1) | instid1(VALU_DEP_3)
	v_add_f16_e64 v185, v79, v129
	v_mul_f16_e32 v79, 0xb836, v77
	v_add_f16_e32 v51, v51, v127
	s_delay_alu instid0(VALU_DEP_2) | instskip(SKIP_3) | instid1(VALU_DEP_2)
	v_fmamk_f16 v80, v86, 0xbacd, v79
	scratch_store_b32 off, v51, off offset:248 ; 4-byte Folded Spill
	v_fma_f16 v51, v86, 0xbacd, -v79
	v_add_f16_e64 v201, v80, v132
	v_add_f16_e64 v51, v51, v131
	scratch_store_b32 off, v51, off offset:252 ; 4-byte Folded Spill
	v_mul_f16_e32 v51, 0x3964, v78
	s_delay_alu instid0(VALU_DEP_1) | instskip(SKIP_1) | instid1(VALU_DEP_2)
	v_fma_f16 v79, v85, 0x39e9, -v51
	v_fmac_f16_e32 v51, 0x39e9, v85
	v_add_f16_e64 v174, v79, v134
	v_mul_f16_e32 v79, 0x3964, v77
	s_delay_alu instid0(VALU_DEP_3) | instskip(NEXT) | instid1(VALU_DEP_2)
	v_add_f16_e64 v51, v51, v133
	v_fmamk_f16 v80, v86, 0x39e9, v79
	scratch_store_b32 off, v51, off offset:256 ; 4-byte Folded Spill
	v_fma_f16 v51, v86, 0x39e9, -v79
	v_add_f16_e64 v176, v80, v137
	s_delay_alu instid0(VALU_DEP_2) | instskip(SKIP_2) | instid1(VALU_DEP_1)
	v_add_f16_e64 v51, v51, v135
	scratch_store_b32 off, v51, off offset:260 ; 4-byte Folded Spill
	v_mul_f16_e32 v51, 0xba62, v78
	v_fma_f16 v79, v85, 0xb8d2, -v51
	v_fmac_f16_e32 v51, 0xb8d2, v85
	s_delay_alu instid0(VALU_DEP_2) | instskip(SKIP_1) | instid1(VALU_DEP_3)
	v_add_f16_e64 v178, v79, v138
	v_mul_f16_e32 v79, 0xba62, v77
	v_add_f16_e64 v51, v51, v136
	s_delay_alu instid0(VALU_DEP_2) | instskip(SKIP_3) | instid1(VALU_DEP_2)
	v_fmamk_f16 v80, v86, 0xb8d2, v79
	scratch_store_b32 off, v51, off offset:264 ; 4-byte Folded Spill
	v_fma_f16 v51, v86, 0xb8d2, -v79
	v_add_f16_e64 v180, v80, v141
	v_add_f16_e64 v51, v51, v139
	scratch_store_b32 off, v51, off offset:268 ; 4-byte Folded Spill
	v_mul_f16_e32 v51, 0x3b29, v78
	s_delay_alu instid0(VALU_DEP_1) | instskip(SKIP_1) | instid1(VALU_DEP_2)
	v_fma_f16 v79, v85, 0x3722, -v51
	v_fmac_f16_e32 v51, 0x3722, v85
	v_add_f16_e64 v160, v79, v142
	v_mul_f16_e32 v79, 0x3b29, v77
	s_delay_alu instid0(VALU_DEP_3) | instskip(NEXT) | instid1(VALU_DEP_2)
	v_add_f16_e64 v51, v51, v140
	v_fmamk_f16 v80, v86, 0x3722, v79
	scratch_store_b32 off, v51, off offset:272 ; 4-byte Folded Spill
	v_fma_f16 v51, v86, 0x3722, -v79
	v_add_f16_e64 v162, v80, v145
	s_delay_alu instid0(VALU_DEP_2) | instskip(SKIP_3) | instid1(VALU_DEP_2)
	v_add_f16_e64 v51, v51, v143
	scratch_store_b32 off, v51, off offset:276 ; 4-byte Folded Spill
	v_mul_f16_e32 v51, 0xbbb2, v78
	v_mul_f16_e32 v78, 0x3bf7, v78
	v_fma_f16 v79, v85, 0xb461, -v51
	v_fmac_f16_e32 v51, 0xb461, v85
	s_delay_alu instid0(VALU_DEP_2) | instskip(SKIP_1) | instid1(VALU_DEP_3)
	v_add_f16_e64 v164, v79, v146
	v_mul_f16_e32 v79, 0xbbb2, v77
	v_add_f16_e64 v51, v51, v144
	v_mul_f16_e32 v77, 0x3bf7, v77
	v_sub_f16_e64 v146, v58, v110
	s_delay_alu instid0(VALU_DEP_4)
	v_fmamk_f16 v80, v86, 0xb461, v79
	scratch_store_b32 off, v51, off offset:280 ; 4-byte Folded Spill
	v_fma_f16 v51, v86, 0xb461, -v79
	v_fma_f16 v79, v85, 0x2de8, -v78
	v_fmac_f16_e32 v78, 0x2de8, v85
	v_add_f16_e64 v166, v80, v148
	v_sub_f16_e32 v80, v49, v112
	v_add_f16_e64 v51, v51, v147
	v_add_f16_e64 v152, v79, v150
	v_fmamk_f16 v79, v86, 0x2de8, v77
	v_fma_f16 v77, v86, 0x2de8, -v77
	v_add_f16_e64 v155, v78, v82
	v_add_f16_e32 v78, v64, v111
	v_sub_f16_e64 v147, v59, v53
	v_add_f16_e64 v154, v79, v153
	v_sub_f16_e32 v79, v64, v111
	v_add_f16_e64 v158, v77, v81
	v_add_f16_e32 v77, v49, v112
	v_mul_f16_e32 v81, 0xb5c8, v80
	v_mul_f16_e32 v85, 0xb964, v80
	;; [unrolled: 1-line block ×5, first 2 shown]
	v_mul_f16_e64 v129, 0xbbf7, v79
	v_mul_f16_e64 v134, 0xbbb2, v79
	;; [unrolled: 1-line block ×4, first 2 shown]
	v_mul_f16_e32 v79, 0xb1e1, v79
	v_fma_f16 v82, v78, 0x3b76, -v81
	v_fmamk_f16 v84, v77, 0x3b76, v83
	v_fma_f16 v83, v77, 0x3b76, -v83
	v_fmamk_f16 v88, v77, 0x39e9, v87
	v_fma_f16 v87, v77, 0x39e9, -v87
	v_mul_f16_e32 v89, 0xbb29, v80
	v_fmamk_f16 v92, v77, 0x3722, v91
	v_fma_f16 v91, v77, 0x3722, -v91
	v_mul_f16_e32 v127, 0xbbf7, v80
	v_fma_f16 v131, 0x2de8, v77, v129
	v_fma_f16 v129, v77, 0x2de8, -v129
	v_mul_f16_e64 v132, 0xbbb2, v80
	v_fma_f16 v135, 0xb461, v77, v134
	v_fma_f16 v134, v77, 0xb461, -v134
	v_mul_f16_e64 v136, 0xba62, v80
	;; [unrolled: 3-line block ×3, first 2 shown]
	v_fma_f16 v143, 0xbacd, v77, v142
	v_fma_f16 v142, v77, 0xbacd, -v142
	v_mul_f16_e32 v80, 0xb1e1, v80
	v_fma_f16 v145, 0xbbdd, v77, v79
	v_fma_f16 v77, v77, 0xbbdd, -v79
	v_add_f16_e32 v79, v58, v110
	v_mul_f16_e64 v148, 0xb964, v147
	v_add_f16_e32 v82, v48, v82
	v_fmac_f16_e32 v81, 0x3b76, v78
	v_fma_f16 v144, v78, 0xbbdd, -v80
	v_fmac_f16_e32 v80, 0xbbdd, v78
	v_fma_f16 v150, v79, 0x39e9, -v148
	v_fma_f16 v86, v78, 0x39e9, -v85
	v_add_f16_e32 v81, v48, v81
	v_fmac_f16_e32 v85, 0x39e9, v78
	v_fma_f16 v90, v78, 0x3722, -v89
	v_fmac_f16_e32 v89, 0x3722, v78
	v_fma_f16 v128, v78, 0x2de8, -v127
	;; [unrolled: 2-line block ×3, first 2 shown]
	v_fmac_f16_e64 v132, 0xb461, v78
	v_fma_f16 v137, v78, 0xb8d2, -v136
	v_fmac_f16_e64 v136, 0xb8d2, v78
	v_fma_f16 v141, v78, 0xbacd, -v140
	v_fmac_f16_e64 v140, 0xbacd, v78
	v_add_f16_e32 v78, v48, v80
	v_add_f16_e32 v80, v59, v53
	v_add_f16_e64 v82, v150, v82
	v_mul_f16_e64 v150, 0xb964, v146
	v_fmac_f16_e64 v148, 0x39e9, v79
	v_add_f16_e32 v83, v73, v83
	v_add_f16_e32 v86, v48, v86
	;; [unrolled: 1-line block ×3, first 2 shown]
	v_fma_f16 v153, 0x39e9, v80, v150
	v_add_f16_e64 v81, v148, v81
	v_fma_f16 v148, v80, 0x39e9, -v150
	v_add_f16_e32 v87, v73, v87
	v_add_f16_e32 v84, v73, v84
	;; [unrolled: 1-line block ×4, first 2 shown]
	v_add_f16_e64 v83, v148, v83
	v_mul_f16_e64 v148, 0xbbf7, v147
	v_add_f16_e64 v84, v153, v84
	v_add_f16_e32 v91, v73, v91
	v_add_f16_e32 v88, v73, v88
	v_add_f16_e64 v128, v48, v128
	v_fma_f16 v150, v79, 0x2de8, -v148
	v_fmac_f16_e64 v148, 0x2de8, v79
	v_add_f16_e32 v127, v48, v127
	v_add_f16_e64 v129, v73, v129
	v_add_f16_e32 v92, v73, v92
	v_add_f16_e64 v86, v150, v86
	v_mul_f16_e64 v150, 0xbbf7, v146
	v_add_f16_e64 v85, v148, v85
	v_add_f16_e64 v133, v48, v133
	;; [unrolled: 1-line block ×4, first 2 shown]
	v_fma_f16 v148, v80, 0x2de8, -v150
	v_fma_f16 v153, 0x2de8, v80, v150
	v_add_f16_e64 v131, v73, v131
	v_add_f16_e64 v137, v48, v137
	;; [unrolled: 1-line block ×4, first 2 shown]
	v_mul_f16_e64 v148, 0xba62, v147
	v_add_f16_e64 v88, v153, v88
	v_add_f16_e64 v138, v73, v138
	;; [unrolled: 1-line block ×4, first 2 shown]
	v_fma_f16 v150, v79, 0xb8d2, -v148
	v_fmac_f16_e64 v148, 0xb8d2, v79
	v_add_f16_e64 v140, v48, v140
	v_add_f16_e64 v142, v73, v142
	;; [unrolled: 1-line block ×4, first 2 shown]
	v_mul_f16_e64 v150, 0xba62, v146
	v_add_f16_e64 v89, v148, v89
	v_add_f16_e64 v145, v73, v145
	v_add_f16_e32 v77, v73, v77
	v_add_f16_e64 v139, v73, v139
	v_fma_f16 v148, v80, 0xb8d2, -v150
	v_fma_f16 v153, 0xb8d2, v80, v150
	v_add_f16_e64 v143, v73, v143
	global_wb scope:SCOPE_SE
	s_wait_storecnt 0x0
	s_barrier_signal -1
	v_add_f16_e64 v91, v148, v91
	v_mul_f16_e64 v148, 0xb1e1, v147
	v_add_f16_e64 v92, v153, v92
	s_barrier_wait -1
	global_inv scope:SCOPE_SE
	v_fma_f16 v150, v79, 0xbbdd, -v148
	v_fmac_f16_e64 v148, 0xbbdd, v79
	s_delay_alu instid0(VALU_DEP_2) | instskip(SKIP_1) | instid1(VALU_DEP_3)
	v_add_f16_e64 v128, v150, v128
	v_mul_f16_e64 v150, 0xb1e1, v146
	v_add_f16_e64 v127, v148, v127
	s_delay_alu instid0(VALU_DEP_2) | instskip(SKIP_1) | instid1(VALU_DEP_2)
	v_fma_f16 v148, v80, 0xbbdd, -v150
	v_fma_f16 v153, 0xbbdd, v80, v150
	v_add_f16_e64 v129, v148, v129
	v_mul_f16_e64 v148, 0x3836, v147
	s_delay_alu instid0(VALU_DEP_3) | instskip(NEXT) | instid1(VALU_DEP_2)
	v_add_f16_e64 v131, v153, v131
	v_fma_f16 v150, v79, 0xbacd, -v148
	v_fmac_f16_e64 v148, 0xbacd, v79
	s_delay_alu instid0(VALU_DEP_2) | instskip(SKIP_1) | instid1(VALU_DEP_3)
	v_add_f16_e64 v133, v150, v133
	v_mul_f16_e64 v150, 0x3836, v146
	v_add_f16_e64 v132, v148, v132
	s_delay_alu instid0(VALU_DEP_2) | instskip(SKIP_1) | instid1(VALU_DEP_2)
	v_fma_f16 v148, v80, 0xbacd, -v150
	v_fma_f16 v153, 0xbacd, v80, v150
	v_add_f16_e64 v134, v148, v134
	v_mul_f16_e64 v148, 0x3bb2, v147
	s_delay_alu instid0(VALU_DEP_3) | instskip(NEXT) | instid1(VALU_DEP_2)
	v_add_f16_e64 v135, v153, v135
	v_fma_f16 v150, v79, 0xb461, -v148
	v_fmac_f16_e64 v148, 0xb461, v79
	s_delay_alu instid0(VALU_DEP_2) | instskip(SKIP_1) | instid1(VALU_DEP_3)
	v_add_f16_e64 v137, v150, v137
	v_mul_f16_e64 v150, 0x3bb2, v146
	v_add_f16_e64 v136, v148, v136
	s_delay_alu instid0(VALU_DEP_2) | instskip(SKIP_1) | instid1(VALU_DEP_2)
	v_fma_f16 v148, v80, 0xb461, -v150
	v_fma_f16 v153, 0xb461, v80, v150
	v_add_f16_e64 v138, v148, v138
	v_mul_f16_e64 v148, 0x3b29, v147
	v_mul_f16_e64 v147, 0x35c8, v147
	s_delay_alu instid0(VALU_DEP_4) | instskip(NEXT) | instid1(VALU_DEP_3)
	v_add_f16_e64 v139, v153, v139
	v_fma_f16 v150, v79, 0x3722, -v148
	v_fmac_f16_e64 v148, 0x3722, v79
	s_delay_alu instid0(VALU_DEP_2) | instskip(SKIP_1) | instid1(VALU_DEP_3)
	v_add_f16_e64 v141, v150, v141
	v_mul_f16_e64 v150, 0x3b29, v146
	v_add_f16_e64 v140, v148, v140
	v_mul_f16_e64 v146, 0x35c8, v146
	s_delay_alu instid0(VALU_DEP_3) | instskip(SKIP_1) | instid1(VALU_DEP_2)
	v_fma_f16 v148, v80, 0x3722, -v150
	v_fma_f16 v153, 0x3722, v80, v150
	v_add_f16_e64 v142, v148, v142
	v_fma_f16 v148, v79, 0x3b76, -v147
	v_fmac_f16_e64 v147, 0x3b76, v79
	v_fma_f16 v79, v80, 0x3b76, -v146
	v_add_f16_e64 v143, v153, v143
	s_delay_alu instid0(VALU_DEP_4)
	v_add_f16_e64 v144, v148, v144
	v_fma_f16 v148, 0x3b76, v80, v146
	v_add_f16_e64 v78, v147, v78
	v_sub_f16_e64 v147, v61, v52
	v_add_f16_e32 v77, v79, v77
	v_add_f16_e32 v79, v60, v109
	v_add_f16_e64 v145, v148, v145
	v_sub_f16_e64 v146, v60, v109
	v_mul_f16_e64 v148, 0xbb29, v147
	v_add_f16_e32 v80, v61, v52
	s_delay_alu instid0(VALU_DEP_2) | instskip(SKIP_1) | instid1(VALU_DEP_2)
	v_fma_f16 v150, v79, 0x3722, -v148
	v_fmac_f16_e64 v148, 0x3722, v79
	v_add_f16_e64 v82, v150, v82
	v_mul_f16_e64 v150, 0xbb29, v146
	s_delay_alu instid0(VALU_DEP_3) | instskip(NEXT) | instid1(VALU_DEP_2)
	v_add_f16_e64 v81, v148, v81
	v_fma_f16 v148, v80, 0x3722, -v150
	v_fma_f16 v153, 0x3722, v80, v150
	s_delay_alu instid0(VALU_DEP_2) | instskip(SKIP_1) | instid1(VALU_DEP_3)
	v_add_f16_e64 v83, v148, v83
	v_mul_f16_e64 v148, 0xba62, v147
	v_add_f16_e64 v84, v153, v84
	s_delay_alu instid0(VALU_DEP_2) | instskip(SKIP_1) | instid1(VALU_DEP_2)
	v_fma_f16 v150, v79, 0xb8d2, -v148
	v_fmac_f16_e64 v148, 0xb8d2, v79
	v_add_f16_e64 v86, v150, v86
	v_mul_f16_e64 v150, 0xba62, v146
	s_delay_alu instid0(VALU_DEP_3) | instskip(NEXT) | instid1(VALU_DEP_2)
	v_add_f16_e64 v85, v148, v85
	v_fma_f16 v148, v80, 0xb8d2, -v150
	v_fma_f16 v153, 0xb8d2, v80, v150
	s_delay_alu instid0(VALU_DEP_2) | instskip(SKIP_1) | instid1(VALU_DEP_3)
	v_add_f16_e64 v87, v148, v87
	v_mul_f16_e64 v148, 0x31e1, v147
	v_add_f16_e64 v88, v153, v88
	s_delay_alu instid0(VALU_DEP_2) | instskip(SKIP_1) | instid1(VALU_DEP_2)
	v_fma_f16 v150, v79, 0xbbdd, -v148
	v_fmac_f16_e64 v148, 0xbbdd, v79
	v_add_f16_e64 v90, v150, v90
	v_mul_f16_e64 v150, 0x31e1, v146
	s_delay_alu instid0(VALU_DEP_3) | instskip(NEXT) | instid1(VALU_DEP_2)
	v_add_f16_e64 v89, v148, v89
	v_fma_f16 v148, v80, 0xbbdd, -v150
	v_fma_f16 v153, 0xbbdd, v80, v150
	s_delay_alu instid0(VALU_DEP_2) | instskip(SKIP_1) | instid1(VALU_DEP_3)
	v_add_f16_e64 v91, v148, v91
	v_mul_f16_e64 v148, 0x3bb2, v147
	v_add_f16_e64 v92, v153, v92
	s_delay_alu instid0(VALU_DEP_2) | instskip(SKIP_1) | instid1(VALU_DEP_2)
	v_fma_f16 v150, v79, 0xb461, -v148
	v_fmac_f16_e64 v148, 0xb461, v79
	v_add_f16_e64 v128, v150, v128
	v_mul_f16_e64 v150, 0x3bb2, v146
	s_delay_alu instid0(VALU_DEP_3) | instskip(NEXT) | instid1(VALU_DEP_2)
	v_add_f16_e64 v127, v148, v127
	v_fma_f16 v148, v80, 0xb461, -v150
	v_fma_f16 v153, 0xb461, v80, v150
	s_delay_alu instid0(VALU_DEP_2) | instskip(SKIP_1) | instid1(VALU_DEP_3)
	v_add_f16_e64 v129, v148, v129
	v_mul_f16_e64 v148, 0x3964, v147
	v_add_f16_e64 v131, v153, v131
	s_delay_alu instid0(VALU_DEP_2) | instskip(SKIP_1) | instid1(VALU_DEP_2)
	v_fma_f16 v150, v79, 0x39e9, -v148
	v_fmac_f16_e64 v148, 0x39e9, v79
	v_add_f16_e64 v133, v150, v133
	v_mul_f16_e64 v150, 0x3964, v146
	s_delay_alu instid0(VALU_DEP_3) | instskip(NEXT) | instid1(VALU_DEP_2)
	v_add_f16_e64 v132, v148, v132
	v_fma_f16 v148, v80, 0x39e9, -v150
	v_fma_f16 v153, 0x39e9, v80, v150
	s_delay_alu instid0(VALU_DEP_2) | instskip(SKIP_1) | instid1(VALU_DEP_3)
	v_add_f16_e64 v134, v148, v134
	v_mul_f16_e64 v148, 0xb5c8, v147
	v_add_f16_e64 v135, v153, v135
	s_delay_alu instid0(VALU_DEP_2) | instskip(SKIP_1) | instid1(VALU_DEP_2)
	v_fma_f16 v150, v79, 0x3b76, -v148
	v_fmac_f16_e64 v148, 0x3b76, v79
	v_add_f16_e64 v137, v150, v137
	v_mul_f16_e64 v150, 0xb5c8, v146
	s_delay_alu instid0(VALU_DEP_3) | instskip(NEXT) | instid1(VALU_DEP_2)
	v_add_f16_e64 v136, v148, v136
	v_fma_f16 v148, v80, 0x3b76, -v150
	v_fma_f16 v153, 0x3b76, v80, v150
	s_delay_alu instid0(VALU_DEP_2) | instskip(SKIP_2) | instid1(VALU_DEP_4)
	v_add_f16_e64 v138, v148, v138
	v_mul_f16_e64 v148, 0xbbf7, v147
	v_mul_f16_e64 v147, 0xb836, v147
	v_add_f16_e64 v139, v153, v139
	s_delay_alu instid0(VALU_DEP_3) | instskip(SKIP_1) | instid1(VALU_DEP_2)
	v_fma_f16 v150, v79, 0x2de8, -v148
	v_fmac_f16_e64 v148, 0x2de8, v79
	v_add_f16_e64 v141, v150, v141
	v_mul_f16_e64 v150, 0xbbf7, v146
	s_delay_alu instid0(VALU_DEP_3) | instskip(SKIP_1) | instid1(VALU_DEP_3)
	v_add_f16_e64 v140, v148, v140
	v_mul_f16_e64 v146, 0xb836, v146
	v_fma_f16 v148, v80, 0x2de8, -v150
	v_fma_f16 v153, 0x2de8, v80, v150
	s_delay_alu instid0(VALU_DEP_2) | instskip(SKIP_4) | instid1(VALU_DEP_4)
	v_add_f16_e64 v142, v148, v142
	v_fma_f16 v148, v79, 0xbacd, -v147
	v_fmac_f16_e64 v147, 0xbacd, v79
	v_fma_f16 v79, v80, 0xbacd, -v146
	v_add_f16_e64 v143, v153, v143
	v_add_f16_e64 v144, v148, v144
	v_fma_f16 v148, 0xbacd, v80, v146
	v_add_f16_e64 v78, v147, v78
	v_sub_f16_e64 v147, v56, v55
	v_add_f16_e32 v77, v79, v77
	v_add_f16_e32 v79, v62, v108
	v_add_f16_e64 v145, v148, v145
	v_sub_f16_e64 v146, v62, v108
	v_mul_f16_e64 v148, 0xbbf7, v147
	v_add_f16_e32 v80, v56, v55
	s_delay_alu instid0(VALU_DEP_2) | instskip(SKIP_1) | instid1(VALU_DEP_2)
	v_fma_f16 v150, v79, 0x2de8, -v148
	v_fmac_f16_e64 v148, 0x2de8, v79
	v_add_f16_e64 v82, v150, v82
	v_mul_f16_e64 v150, 0xbbf7, v146
	s_delay_alu instid0(VALU_DEP_3) | instskip(NEXT) | instid1(VALU_DEP_2)
	v_add_f16_e64 v81, v148, v81
	v_fma_f16 v148, v80, 0x2de8, -v150
	v_fma_f16 v153, 0x2de8, v80, v150
	s_delay_alu instid0(VALU_DEP_2) | instskip(SKIP_1) | instid1(VALU_DEP_3)
	v_add_f16_e64 v83, v148, v83
	v_mul_f16_e64 v148, 0xb1e1, v147
	v_add_f16_e64 v84, v153, v84
	s_delay_alu instid0(VALU_DEP_2) | instskip(SKIP_1) | instid1(VALU_DEP_2)
	v_fma_f16 v150, v79, 0xbbdd, -v148
	v_fmac_f16_e64 v148, 0xbbdd, v79
	v_add_f16_e64 v86, v150, v86
	v_mul_f16_e64 v150, 0xb1e1, v146
	s_delay_alu instid0(VALU_DEP_3) | instskip(NEXT) | instid1(VALU_DEP_2)
	v_add_f16_e64 v85, v148, v85
	v_fma_f16 v148, v80, 0xbbdd, -v150
	v_fma_f16 v153, 0xbbdd, v80, v150
	s_delay_alu instid0(VALU_DEP_2) | instskip(SKIP_1) | instid1(VALU_DEP_3)
	v_add_f16_e64 v87, v148, v87
	v_mul_f16_e64 v148, 0x3bb2, v147
	v_add_f16_e64 v88, v153, v88
	;; [unrolled: 13-line block ×5, first 2 shown]
	s_delay_alu instid0(VALU_DEP_2) | instskip(SKIP_1) | instid1(VALU_DEP_2)
	v_fma_f16 v150, v79, 0xbacd, -v148
	v_fmac_f16_e64 v148, 0xbacd, v79
	v_add_f16_e64 v137, v150, v137
	v_mul_f16_e64 v150, 0xb836, v146
	s_delay_alu instid0(VALU_DEP_3) | instskip(NEXT) | instid1(VALU_DEP_2)
	v_add_f16_e64 v136, v148, v136
	v_fma_f16 v148, v80, 0xbacd, -v150
	v_fma_f16 v153, 0xbacd, v80, v150
	s_delay_alu instid0(VALU_DEP_2) | instskip(SKIP_2) | instid1(VALU_DEP_4)
	v_add_f16_e64 v138, v148, v138
	v_mul_f16_e64 v148, 0x3a62, v147
	v_mul_f16_e64 v147, 0x3964, v147
	v_add_f16_e64 v139, v153, v139
	s_delay_alu instid0(VALU_DEP_3) | instskip(SKIP_1) | instid1(VALU_DEP_2)
	v_fma_f16 v150, v79, 0xb8d2, -v148
	v_fmac_f16_e64 v148, 0xb8d2, v79
	v_add_f16_e64 v141, v150, v141
	v_mul_f16_e64 v150, 0x3a62, v146
	s_delay_alu instid0(VALU_DEP_3) | instskip(SKIP_1) | instid1(VALU_DEP_3)
	v_add_f16_e64 v140, v148, v140
	v_mul_f16_e64 v146, 0x3964, v146
	v_fma_f16 v148, v80, 0xb8d2, -v150
	v_fma_f16 v153, 0xb8d2, v80, v150
	s_delay_alu instid0(VALU_DEP_2) | instskip(SKIP_4) | instid1(VALU_DEP_4)
	v_add_f16_e64 v142, v148, v142
	v_fma_f16 v148, v79, 0x39e9, -v147
	v_fmac_f16_e64 v147, 0x39e9, v79
	v_fma_f16 v79, v80, 0x39e9, -v146
	v_add_f16_e64 v143, v153, v143
	v_add_f16_e64 v144, v148, v144
	v_fma_f16 v148, 0x39e9, v80, v146
	v_add_f16_e64 v78, v147, v78
	v_sub_f16_e64 v147, v57, v54
	v_add_f16_e32 v77, v79, v77
	v_add_f16_e32 v79, v65, v95
	v_add_f16_e64 v145, v148, v145
	v_sub_f16_e64 v146, v65, v95
	v_mul_f16_e64 v148, 0xbbb2, v147
	v_add_f16_e32 v80, v57, v54
	s_delay_alu instid0(VALU_DEP_2) | instskip(SKIP_1) | instid1(VALU_DEP_2)
	v_fma_f16 v150, v79, 0xb461, -v148
	v_fmac_f16_e64 v148, 0xb461, v79
	v_add_f16_e64 v82, v150, v82
	v_mul_f16_e64 v150, 0xbbb2, v146
	s_delay_alu instid0(VALU_DEP_3) | instskip(NEXT) | instid1(VALU_DEP_2)
	v_add_f16_e64 v81, v148, v81
	v_fma_f16 v148, v80, 0xb461, -v150
	v_fma_f16 v153, 0xb461, v80, v150
	s_delay_alu instid0(VALU_DEP_2) | instskip(SKIP_1) | instid1(VALU_DEP_3)
	v_add_f16_e64 v83, v148, v83
	v_mul_f16_e64 v148, 0x3836, v147
	v_add_f16_e64 v84, v153, v84
	s_delay_alu instid0(VALU_DEP_2) | instskip(SKIP_1) | instid1(VALU_DEP_2)
	v_fma_f16 v150, v79, 0xbacd, -v148
	v_fmac_f16_e64 v148, 0xbacd, v79
	v_add_f16_e64 v86, v150, v86
	v_mul_f16_e64 v150, 0x3836, v146
	s_delay_alu instid0(VALU_DEP_3) | instskip(NEXT) | instid1(VALU_DEP_2)
	v_add_f16_e64 v85, v148, v85
	v_fma_f16 v148, v80, 0xbacd, -v150
	v_fma_f16 v153, 0xbacd, v80, v150
	s_delay_alu instid0(VALU_DEP_2) | instskip(SKIP_1) | instid1(VALU_DEP_3)
	v_add_f16_e64 v87, v148, v87
	v_mul_f16_e64 v148, 0x3964, v147
	v_add_f16_e64 v88, v153, v88
	s_delay_alu instid0(VALU_DEP_2) | instskip(SKIP_1) | instid1(VALU_DEP_2)
	v_fma_f16 v150, v79, 0x39e9, -v148
	v_fmac_f16_e64 v148, 0x39e9, v79
	v_add_f16_e64 v90, v150, v90
	v_mul_f16_e64 v150, 0x3964, v146
	s_delay_alu instid0(VALU_DEP_3) | instskip(NEXT) | instid1(VALU_DEP_2)
	v_add_f16_e64 v89, v148, v89
	v_fma_f16 v148, v80, 0x39e9, -v150
	v_fma_f16 v153, 0x39e9, v80, v150
	s_delay_alu instid0(VALU_DEP_2) | instskip(SKIP_1) | instid1(VALU_DEP_3)
	v_add_f16_e64 v91, v148, v91
	v_mul_f16_e64 v148, 0xbb29, v147
	v_add_f16_e64 v92, v153, v92
	s_delay_alu instid0(VALU_DEP_2) | instskip(SKIP_1) | instid1(VALU_DEP_2)
	v_fma_f16 v150, v79, 0x3722, -v148
	v_fmac_f16_e64 v148, 0x3722, v79
	v_add_f16_e64 v128, v150, v128
	v_mul_f16_e64 v150, 0xbb29, v146
	s_delay_alu instid0(VALU_DEP_3) | instskip(NEXT) | instid1(VALU_DEP_2)
	v_add_f16_e64 v127, v148, v127
	v_fma_f16 v148, v80, 0x3722, -v150
	v_fma_f16 v153, 0x3722, v80, v150
	s_delay_alu instid0(VALU_DEP_2) | instskip(SKIP_1) | instid1(VALU_DEP_3)
	v_add_f16_e64 v129, v148, v129
	v_mul_f16_e64 v148, 0xb1e1, v147
	v_add_f16_e64 v131, v153, v131
	s_delay_alu instid0(VALU_DEP_2) | instskip(SKIP_1) | instid1(VALU_DEP_2)
	v_fma_f16 v150, v79, 0xbbdd, -v148
	v_fmac_f16_e64 v148, 0xbbdd, v79
	v_add_f16_e64 v133, v150, v133
	v_mul_f16_e64 v150, 0xb1e1, v146
	s_delay_alu instid0(VALU_DEP_3) | instskip(NEXT) | instid1(VALU_DEP_2)
	v_add_f16_e64 v132, v148, v132
	v_fma_f16 v148, v80, 0xbbdd, -v150
	v_fma_f16 v153, 0xbbdd, v80, v150
	s_delay_alu instid0(VALU_DEP_2) | instskip(SKIP_1) | instid1(VALU_DEP_3)
	v_add_f16_e64 v134, v148, v134
	v_mul_f16_e64 v148, 0x3bf7, v147
	v_add_f16_e64 v135, v153, v135
	s_delay_alu instid0(VALU_DEP_2) | instskip(SKIP_1) | instid1(VALU_DEP_2)
	v_fma_f16 v150, v79, 0x2de8, -v148
	v_fmac_f16_e64 v148, 0x2de8, v79
	v_add_f16_e64 v137, v150, v137
	v_mul_f16_e64 v150, 0x3bf7, v146
	s_delay_alu instid0(VALU_DEP_3) | instskip(NEXT) | instid1(VALU_DEP_2)
	v_add_f16_e64 v136, v148, v136
	v_fma_f16 v148, v80, 0x2de8, -v150
	v_fma_f16 v153, 0x2de8, v80, v150
	s_delay_alu instid0(VALU_DEP_2) | instskip(SKIP_2) | instid1(VALU_DEP_4)
	v_add_f16_e64 v138, v148, v138
	v_mul_f16_e64 v148, 0xb5c8, v147
	v_mul_f16_e64 v147, 0xba62, v147
	v_add_f16_e64 v139, v153, v139
	s_delay_alu instid0(VALU_DEP_3) | instskip(SKIP_1) | instid1(VALU_DEP_2)
	v_fma_f16 v150, v79, 0x3b76, -v148
	v_fmac_f16_e64 v148, 0x3b76, v79
	v_add_f16_e64 v141, v150, v141
	v_mul_f16_e64 v150, 0xb5c8, v146
	s_delay_alu instid0(VALU_DEP_3) | instskip(SKIP_1) | instid1(VALU_DEP_3)
	v_add_f16_e64 v140, v148, v140
	v_mul_f16_e64 v146, 0xba62, v146
	v_fma_f16 v148, v80, 0x3b76, -v150
	v_fma_f16 v153, 0x3b76, v80, v150
	s_delay_alu instid0(VALU_DEP_2) | instskip(SKIP_4) | instid1(VALU_DEP_4)
	v_add_f16_e64 v142, v148, v142
	v_fma_f16 v148, v79, 0xb8d2, -v147
	v_fmac_f16_e64 v147, 0xb8d2, v79
	v_fma_f16 v79, v80, 0xb8d2, -v146
	v_add_f16_e64 v143, v153, v143
	v_add_f16_e64 v144, v148, v144
	v_fma_f16 v148, 0xb8d2, v80, v146
	v_add_f16_e64 v78, v147, v78
	v_sub_f16_e64 v147, v67, v97
	v_add_f16_e32 v77, v79, v77
	v_add_f16_e32 v79, v66, v96
	v_add_f16_e64 v145, v148, v145
	v_sub_f16_e64 v146, v66, v96
	v_mul_f16_e64 v148, 0xba62, v147
	v_add_f16_e32 v80, v67, v97
	s_delay_alu instid0(VALU_DEP_2) | instskip(SKIP_1) | instid1(VALU_DEP_2)
	v_fma_f16 v150, v79, 0xb8d2, -v148
	v_fmac_f16_e64 v148, 0xb8d2, v79
	v_add_f16_e64 v82, v150, v82
	v_mul_f16_e64 v150, 0xba62, v146
	s_delay_alu instid0(VALU_DEP_3) | instskip(NEXT) | instid1(VALU_DEP_2)
	v_add_f16_e64 v81, v148, v81
	v_fma_f16 v148, v80, 0xb8d2, -v150
	v_fma_f16 v153, 0xb8d2, v80, v150
	s_delay_alu instid0(VALU_DEP_2) | instskip(SKIP_1) | instid1(VALU_DEP_3)
	v_add_f16_e64 v83, v148, v83
	v_mul_f16_e64 v148, 0x3bb2, v147
	v_add_f16_e64 v84, v153, v84
	s_delay_alu instid0(VALU_DEP_2) | instskip(SKIP_1) | instid1(VALU_DEP_2)
	v_fma_f16 v150, v79, 0xb461, -v148
	v_fmac_f16_e64 v148, 0xb461, v79
	v_add_f16_e64 v86, v150, v86
	v_mul_f16_e64 v150, 0x3bb2, v146
	s_delay_alu instid0(VALU_DEP_3) | instskip(NEXT) | instid1(VALU_DEP_2)
	v_add_f16_e64 v85, v148, v85
	v_fma_f16 v148, v80, 0xb461, -v150
	v_fma_f16 v153, 0xb461, v80, v150
	s_delay_alu instid0(VALU_DEP_2) | instskip(SKIP_1) | instid1(VALU_DEP_3)
	v_add_f16_e64 v87, v148, v87
	v_mul_f16_e64 v148, 0xb5c8, v147
	v_add_f16_e64 v88, v153, v88
	;; [unrolled: 13-line block ×6, first 2 shown]
	s_delay_alu instid0(VALU_DEP_2) | instskip(SKIP_1) | instid1(VALU_DEP_2)
	v_fma_f16 v133, v79, 0xbbdd, -v132
	v_fmac_f16_e64 v132, 0xbbdd, v79
	v_add_f16_e64 v141, v133, v141
	v_mul_f16_e64 v133, 0xb1e1, v146
	s_delay_alu instid0(VALU_DEP_3) | instskip(NEXT) | instid1(VALU_DEP_2)
	v_add_f16_e64 v140, v132, v140
	v_fma_f16 v132, v80, 0xbbdd, -v133
	v_fma_f16 v153, 0xbbdd, v80, v133
	s_delay_alu instid0(VALU_DEP_2) | instskip(SKIP_2) | instid1(VALU_DEP_4)
	v_add_f16_e64 v142, v132, v142
	v_mul_f16_e64 v132, 0x3b29, v147
	v_sub_f16_e64 v147, v69, v101
	v_add_f16_e64 v143, v153, v143
	s_delay_alu instid0(VALU_DEP_3) | instskip(SKIP_1) | instid1(VALU_DEP_2)
	v_fma_f16 v133, v79, 0x3722, -v132
	v_fmac_f16_e64 v132, 0x3722, v79
	v_add_f16_e64 v144, v133, v144
	v_mul_f16_e64 v133, 0x3b29, v146
	s_delay_alu instid0(VALU_DEP_3) | instskip(SKIP_1) | instid1(VALU_DEP_3)
	v_add_f16_e64 v78, v132, v78
	v_mul_f16_e64 v132, 0xb836, v147
	v_fma_f16 v79, v80, 0x3722, -v133
	v_fma_f16 v146, 0x3722, v80, v133
	v_add_f16_e32 v80, v69, v101
	s_delay_alu instid0(VALU_DEP_3) | instskip(SKIP_1) | instid1(VALU_DEP_4)
	v_add_f16_e32 v77, v79, v77
	v_add_f16_e32 v79, v68, v100
	v_add_f16_e64 v145, v146, v145
	v_sub_f16_e64 v146, v68, v100
	s_delay_alu instid0(VALU_DEP_3) | instskip(SKIP_1) | instid1(VALU_DEP_2)
	v_fma_f16 v133, v79, 0xbacd, -v132
	v_fmac_f16_e64 v132, 0xbacd, v79
	v_add_f16_e64 v153, v133, v82
	s_delay_alu instid0(VALU_DEP_4) | instskip(NEXT) | instid1(VALU_DEP_3)
	v_mul_f16_e64 v82, 0xb836, v146
	v_add_f16_e64 v157, v132, v81
	s_delay_alu instid0(VALU_DEP_2) | instskip(SKIP_1) | instid1(VALU_DEP_2)
	v_fma_f16 v81, v80, 0xbacd, -v82
	v_fma_f16 v133, 0xbacd, v80, v82
	v_add_f16_e64 v159, v81, v83
	v_mul_f16_e64 v81, 0x3b29, v147
	s_delay_alu instid0(VALU_DEP_3) | instskip(NEXT) | instid1(VALU_DEP_2)
	v_add_f16_e64 v156, v133, v84
	v_fma_f16 v82, v79, 0x3722, -v81
	v_fmac_f16_e32 v81, 0x3722, v79
	s_delay_alu instid0(VALU_DEP_2) | instskip(SKIP_1) | instid1(VALU_DEP_3)
	v_add_f16_e64 v161, v82, v86
	v_mul_f16_e64 v82, 0x3b29, v146
	v_add_f16_e64 v165, v81, v85
	v_mul_f16_e64 v85, 0x3a62, v146
	s_delay_alu instid0(VALU_DEP_3) | instskip(SKIP_2) | instid1(VALU_DEP_4)
	v_fmamk_f16 v83, v80, 0x3722, v82
	v_fma_f16 v81, v80, 0x3722, -v82
	v_mul_f16_e64 v82, 0xbbf7, v147
	v_fmamk_f16 v86, v80, 0xb8d2, v85
	v_fma_f16 v85, v80, 0xb8d2, -v85
	v_add_f16_e64 v163, v83, v88
	v_add_f16_e64 v167, v81, v87
	v_fma_f16 v81, v79, 0x2de8, -v82
	v_mul_f16_e64 v83, 0xbbf7, v146
	v_fmac_f16_e32 v82, 0x2de8, v79
	v_add_f16_e64 v131, v86, v131
	v_mul_f16_e64 v86, 0xb5c8, v147
	v_add_f16_e64 v129, v85, v129
	v_fmamk_f16 v84, v80, 0x2de8, v83
	v_add_f16_e64 v132, v82, v89
	v_fma_f16 v82, v80, 0x2de8, -v83
	v_mul_f16_e64 v83, 0x3a62, v147
	v_fma_f16 v85, v79, 0x3b76, -v86
	v_mul_f16_e64 v87, 0xb5c8, v146
	v_fmac_f16_e32 v86, 0x3b76, v79
	v_add_f16_e64 v133, v82, v91
	v_fma_f16 v82, v79, 0xb8d2, -v83
	v_fmac_f16_e32 v83, 0xb8d2, v79
	v_mul_f16_e64 v89, 0xb1e1, v146
	v_add_f16_e32 v81, v81, v90
	v_mul_f16_e64 v91, 0x3964, v146
	v_add_f16_e64 v82, v82, v128
	v_add_f16_e32 v83, v83, v127
	v_add_f16_e64 v127, v86, v148
	v_fma_f16 v86, v80, 0x3b76, -v87
	v_fmamk_f16 v90, v80, 0xbbdd, v89
	v_fma_f16 v89, v80, 0xbbdd, -v89
	v_add_f16_e32 v84, v84, v92
	v_fmamk_f16 v92, v80, 0x39e9, v91
	v_add_f16_e64 v128, v86, v134
	v_add_f16_e64 v134, v90, v139
	v_mul_f16_e64 v90, 0x3964, v147
	v_add_f16_e64 v138, v89, v138
	v_fmamk_f16 v88, v80, 0x3b76, v87
	v_mul_f16_e64 v87, 0xb1e1, v147
	v_add_f16_e64 v92, v92, v143
	v_fma_f16 v89, v79, 0x39e9, -v90
	v_fmac_f16_e32 v90, 0x39e9, v79
	v_add_f16_e64 v88, v88, v135
	v_fma_f16 v86, v79, 0xbbdd, -v87
	v_fmac_f16_e32 v87, 0xbbdd, v79
	v_mul_f16_e64 v135, 0xbbb2, v146
	v_add_f16_e64 v143, v90, v140
	v_fma_f16 v90, v80, 0x39e9, -v91
	v_mul_f16_e64 v91, 0xbbb2, v147
	v_add_f16_e64 v87, v87, v136
	v_fma_f16 v136, 0xb461, v80, v135
	v_add_f16_e64 v86, v86, v137
	v_add_f16_e64 v220, v90, v142
	v_fma_f16 v90, v79, 0xb461, -v91
	v_fmac_f16_e32 v91, 0xb461, v79
	v_add_f16_e64 v145, v136, v145
	v_add_f16_e64 v85, v85, v150
	;; [unrolled: 1-line block ×4, first 2 shown]
	v_add_f16_e32 v91, v91, v78
	v_fma_f16 v78, v80, 0xb461, -v135
	v_mul_f16_e64 v135, 0x35c8, v219
	v_mul_f16_e64 v79, 0xb1e1, v219
	s_delay_alu instid0(VALU_DEP_3) | instskip(NEXT) | instid1(VALU_DEP_3)
	v_add_f16_e64 v147, v78, v77
	v_fma_f16 v136, 0x3b76, v217, v135
	v_fma_f16 v135, v217, 0x3b76, -v135
	v_mul_f16_e64 v78, 0xb1e1, v221
	v_fma_f16 v80, 0xbbdd, v217, v79
	s_delay_alu instid0(VALU_DEP_4) | instskip(NEXT) | instid1(VALU_DEP_4)
	v_add_f16_e64 v251, v136, v163
	v_add_f16_e64 v252, v135, v167
	v_mul_f16_e64 v135, 0xb836, v221
	v_fma_f16 v77, v218, 0xbbdd, -v78
	v_fmac_f16_e64 v78, 0xbbdd, v218
	v_add_f16_e64 v249, v80, v156
	s_delay_alu instid0(VALU_DEP_4) | instskip(SKIP_1) | instid1(VALU_DEP_4)
	v_fma_f16 v136, v218, 0xbacd, -v135
	v_fmac_f16_e64 v135, 0xbacd, v218
	v_add_f16_e64 v80, v78, v157
	v_fma_f16 v78, v217, 0xbbdd, -v79
	v_mul_f16_e64 v79, 0x35c8, v221
	v_add_f16_e64 v81, v136, v81
	v_mul_f16_e64 v136, 0xb836, v219
	v_add_f16_e64 v77, v77, v153
	v_add_f16_e64 v250, v78, v159
	v_fma_f16 v78, v218, 0x3b76, -v79
	v_fmac_f16_e64 v79, 0x3b76, v218
	v_fma_f16 v137, 0xbacd, v217, v136
	s_delay_alu instid0(VALU_DEP_3) | instskip(NEXT) | instid1(VALU_DEP_3)
	v_add_f16_e64 v78, v78, v161
	v_add_f16_e64 v79, v79, v165
	s_delay_alu instid0(VALU_DEP_3) | instskip(SKIP_2) | instid1(VALU_DEP_1)
	v_add_f16_e64 v253, v137, v84
	v_add_f16_e64 v84, v135, v132
	v_fma_f16 v132, v217, 0xbacd, -v136
	v_add_f16_e64 v254, v132, v133
	v_mul_f16_e64 v132, 0x3964, v221
	s_delay_alu instid0(VALU_DEP_1) | instskip(SKIP_1) | instid1(VALU_DEP_2)
	v_fma_f16 v133, v218, 0x39e9, -v132
	v_fmac_f16_e64 v132, 0x39e9, v218
	v_add_f16_e64 v82, v133, v82
	v_mul_f16_e64 v133, 0x3964, v219
	s_delay_alu instid0(VALU_DEP_3) | instskip(SKIP_1) | instid1(VALU_DEP_3)
	v_add_f16_e64 v83, v132, v83
	v_mul_f16_e64 v132, 0xba62, v219
	v_fma_f16 v135, 0x39e9, v217, v133
	s_delay_alu instid0(VALU_DEP_1) | instskip(SKIP_1) | instid1(VALU_DEP_1)
	v_add_f16_e64 v255, v135, v131
	v_fma_f16 v131, v217, 0x39e9, -v133
	v_add_f16_e64 v136, v131, v129
	v_mul_f16_e64 v131, 0xba62, v221
	s_delay_alu instid0(VALU_DEP_1) | instskip(SKIP_1) | instid1(VALU_DEP_2)
	v_fma_f16 v129, v218, 0xb8d2, -v131
	v_fmac_f16_e64 v131, 0xb8d2, v218
	v_add_f16_e64 v85, v129, v85
	v_fma_f16 v129, 0xb8d2, v217, v132
	s_delay_alu instid0(VALU_DEP_1) | instskip(NEXT) | instid1(VALU_DEP_4)
	v_add_f16_e64 v129, v129, v88
	v_add_f16_e64 v88, v131, v127
	v_fma_f16 v127, v217, 0xb8d2, -v132
	s_delay_alu instid0(VALU_DEP_1) | instskip(SKIP_1) | instid1(VALU_DEP_1)
	v_add_f16_e64 v132, v127, v128
	v_mul_f16_e64 v127, 0x3b29, v221
	v_fma_f16 v128, v218, 0x3722, -v127
	v_fmac_f16_e64 v127, 0x3722, v218
	s_delay_alu instid0(VALU_DEP_2) | instskip(SKIP_1) | instid1(VALU_DEP_3)
	v_add_f16_e64 v86, v128, v86
	v_mul_f16_e64 v128, 0x3b29, v219
	v_add_f16_e32 v87, v127, v87
	s_delay_alu instid0(VALU_DEP_2) | instskip(SKIP_1) | instid1(VALU_DEP_2)
	v_fma_f16 v127, v217, 0x3722, -v128
	v_fma_f16 v131, 0x3722, v217, v128
	v_add_f16_e64 v138, v127, v138
	v_mul_f16_e64 v127, 0xbbb2, v221
	s_delay_alu instid0(VALU_DEP_3) | instskip(NEXT) | instid1(VALU_DEP_2)
	v_add_f16_e64 v134, v131, v134
	v_fma_f16 v128, v218, 0xb461, -v127
	v_fmac_f16_e64 v127, 0xb461, v218
	s_delay_alu instid0(VALU_DEP_2) | instskip(SKIP_1) | instid1(VALU_DEP_1)
	v_add_f16_e64 v89, v128, v89
	v_mul_f16_e64 v128, 0xbbb2, v219
	v_fma_f16 v131, 0xb461, v217, v128
	s_delay_alu instid0(VALU_DEP_1) | instskip(SKIP_2) | instid1(VALU_DEP_1)
	v_add_f16_e64 v140, v131, v92
	v_add_f16_e64 v92, v127, v143
	v_fma_f16 v127, v217, 0xb461, -v128
	v_add_f16_e64 v143, v127, v220
	v_mul_f16_e64 v127, 0x3bf7, v221
	s_delay_alu instid0(VALU_DEP_1) | instskip(SKIP_1) | instid1(VALU_DEP_2)
	v_fma_f16 v128, v218, 0x2de8, -v127
	v_fmac_f16_e64 v127, 0x2de8, v218
	v_add_f16_e64 v90, v128, v90
	v_mul_f16_e64 v128, 0x3bf7, v219
	s_delay_alu instid0(VALU_DEP_3) | instskip(NEXT) | instid1(VALU_DEP_2)
	v_add_f16_e32 v91, v127, v91
	v_fma_f16 v127, v217, 0x2de8, -v128
	v_fma_f16 v131, 0x2de8, v217, v128
	s_delay_alu instid0(VALU_DEP_2) | instskip(SKIP_1) | instid1(VALU_DEP_3)
	v_add_f16_e64 v147, v127, v147
	v_and_b32_e32 v127, 0xffff, v149
	v_add_f16_e64 v145, v131, v145
	s_delay_alu instid0(VALU_DEP_2) | instskip(NEXT) | instid1(VALU_DEP_1)
	v_mul_u32_u24_e32 v127, 0x77, v127
	v_add_nc_u32_e32 v127, v127, v202
	s_delay_alu instid0(VALU_DEP_1)
	v_lshl_add_u32 v149, v127, 2, v200
	ds_store_2addr_b32 v149, v124, v50 offset1:7
	v_pack_b32_f16 v50, v119, v118
	ds_store_2addr_b32 v149, v50, v115 offset0:14 offset1:21
	v_pack_b32_f16 v50, v123, v122
	v_pack_b32_f16 v115, v121, v120
	ds_store_2addr_b32 v149, v50, v115 offset0:28 offset1:35
	v_pack_b32_f16 v50, v197, v198
	;; [unrolled: 3-line block ×7, first 2 shown]
	ds_store_b32 v149, v50 offset:448
	v_and_b32_e32 v50, 0xffff, v113
	v_pack_b32_f16 v113, v203, v204
	s_delay_alu instid0(VALU_DEP_2) | instskip(NEXT) | instid1(VALU_DEP_1)
	v_mul_u32_u24_e32 v50, 0x77, v50
	v_add_nc_u32_e32 v50, v50, v114
	s_delay_alu instid0(VALU_DEP_1)
	v_lshl_add_u32 v151, v50, 2, v200
	v_pack_b32_f16 v50, v170, v172
	ds_store_2addr_b32 v151, v50, v113 offset1:7
	v_pack_b32_f16 v50, v182, v183
	v_pack_b32_f16 v113, v185, v201
	ds_store_2addr_b32 v151, v50, v113 offset0:14 offset1:21
	v_pack_b32_f16 v50, v174, v176
	v_pack_b32_f16 v113, v178, v180
	ds_store_2addr_b32 v151, v50, v113 offset0:28 offset1:35
	v_pack_b32_f16 v50, v160, v162
	v_pack_b32_f16 v113, v164, v166
	v_and_b32_e32 v166, 0xff, v63
	ds_store_2addr_b32 v151, v50, v113 offset0:42 offset1:49
	v_pack_b32_f16 v50, v152, v154
	v_pack_b32_f16 v113, v155, v158
	ds_store_2addr_b32 v151, v50, v113 offset0:56 offset1:63
	scratch_load_b32 v50, off, off offset:280 th:TH_LOAD_LU ; 4-byte Folded Reload
	s_wait_loadcnt 0x0
	v_pack_b32_f16 v50, v50, v51
	s_clause 0x1
	scratch_load_b32 v51, off, off offset:272 th:TH_LOAD_LU
	scratch_load_b32 v76, off, off offset:276 th:TH_LOAD_LU
	s_wait_loadcnt 0x0
	v_pack_b32_f16 v51, v51, v76
	ds_store_2addr_b32 v151, v50, v51 offset0:70 offset1:77
	s_clause 0x1
	scratch_load_b32 v50, off, off offset:264 th:TH_LOAD_LU
	scratch_load_b32 v51, off, off offset:268 th:TH_LOAD_LU
	s_wait_loadcnt 0x0
	v_pack_b32_f16 v50, v50, v51
	s_clause 0x1
	scratch_load_b32 v51, off, off offset:256 th:TH_LOAD_LU
	scratch_load_b32 v76, off, off offset:260 th:TH_LOAD_LU
	s_wait_loadcnt 0x0
	v_pack_b32_f16 v51, v51, v76
	ds_store_2addr_b32 v151, v50, v51 offset0:84 offset1:91
	s_clause 0x1
	scratch_load_b32 v50, off, off offset:248 th:TH_LOAD_LU
	scratch_load_b32 v51, off, off offset:252 th:TH_LOAD_LU
	s_wait_loadcnt 0x0
	v_pack_b32_f16 v50, v50, v51
	v_pack_b32_f16 v51, v173, v216
	ds_store_2addr_b32 v151, v50, v51 offset0:98 offset1:105
	v_pack_b32_f16 v50, v169, v171
	ds_store_b32 v151, v50 offset:448
	s_and_saveexec_b32 s0, vcc_lo
	s_cbranch_execz .LBB0_5
; %bb.4:
	v_add_f16_e32 v48, v48, v64
	v_add_f16_e32 v49, v73, v49
	v_lshl_add_u32 v50, v166, 2, v200
	v_perm_b32 v63, v138, v87, 0x5040100
	v_perm_b32 v64, v136, v83, 0x5040100
	v_add_f16_e32 v48, v48, v58
	v_add_f16_e32 v49, v49, v59
	v_perm_b32 v58, v255, v82, 0x5040100
	v_perm_b32 v59, v129, v85, 0x5040100
	;; [unrolled: 1-line block ×3, first 2 shown]
	v_add_f16_e32 v48, v48, v60
	v_add_f16_e32 v49, v49, v61
	v_perm_b32 v61, v145, v90, 0x5040100
	v_perm_b32 v60, v140, v89, 0x5040100
	s_delay_alu instid0(VALU_DEP_4) | instskip(NEXT) | instid1(VALU_DEP_4)
	v_add_f16_e32 v48, v48, v62
	v_add_f16_e32 v49, v49, v56
	v_perm_b32 v56, v251, v78, 0x5040100
	v_perm_b32 v62, v143, v92, 0x5040100
	s_delay_alu instid0(VALU_DEP_4) | instskip(NEXT) | instid1(VALU_DEP_4)
	;; [unrolled: 5-line block ×3, first 2 shown]
	v_add_f16_e32 v48, v48, v66
	v_add_f16_e32 v49, v49, v67
	v_add_nc_u32_e32 v66, 0x400, v50
	v_add_nc_u32_e32 v67, 0x800, v50
	s_delay_alu instid0(VALU_DEP_4) | instskip(NEXT) | instid1(VALU_DEP_4)
	v_add_f16_e32 v48, v48, v68
	v_add_f16_e32 v49, v49, v69
	v_perm_b32 v68, v250, v80, 0x5040100
	s_delay_alu instid0(VALU_DEP_3) | instskip(NEXT) | instid1(VALU_DEP_3)
	v_add_f16_e32 v48, v48, v70
	v_add_f16_e32 v49, v49, v71
	s_delay_alu instid0(VALU_DEP_2) | instskip(NEXT) | instid1(VALU_DEP_2)
	v_add_f16_e32 v48, v48, v98
	v_add_f16_e32 v49, v49, v99
	s_delay_alu instid0(VALU_DEP_2) | instskip(NEXT) | instid1(VALU_DEP_2)
	;; [unrolled: 3-line block ×4, first 2 shown]
	v_add_f16_e32 v48, v48, v95
	v_add_f16_e32 v49, v49, v54
	v_perm_b32 v54, v134, v86, 0x5040100
	ds_store_2addr_b32 v66, v56, v57 offset0:234 offset1:241
	ds_store_2addr_b32 v66, v58, v59 offset0:248 offset1:255
	;; [unrolled: 1-line block ×3, first 2 shown]
	v_add_f16_e32 v48, v48, v108
	v_add_f16_e32 v49, v49, v55
	v_perm_b32 v55, v147, v91, 0x5040100
	s_delay_alu instid0(VALU_DEP_3) | instskip(NEXT) | instid1(VALU_DEP_3)
	v_add_f16_e32 v48, v48, v109
	v_add_f16_e32 v49, v49, v52
	v_perm_b32 v52, v132, v88, 0x5040100
	s_delay_alu instid0(VALU_DEP_3) | instskip(NEXT) | instid1(VALU_DEP_3)
	;; [unrolled: 4-line block ×3, first 2 shown]
	v_add_f16_e32 v48, v48, v111
	v_add_f16_e32 v49, v49, v112
	s_delay_alu instid0(VALU_DEP_1)
	v_pack_b32_f16 v48, v48, v49
	ds_store_2addr_b32 v67, v61, v55 offset0:20 offset1:27
	ds_store_2addr_b32 v67, v62, v63 offset0:34 offset1:41
	;; [unrolled: 1-line block ×5, first 2 shown]
	ds_store_b32 v50, v68 offset:2352
.LBB0_5:
	s_wait_alu 0xfffe
	s_or_b32 exec_lo, exec_lo, s0
	v_lshlrev_b32_e32 v109, 4, v186
	v_lshlrev_b32_e32 v48, 4, v72
	global_wb scope:SCOPE_SE
	s_wait_dscnt 0x0
	s_barrier_signal -1
	s_barrier_wait -1
	global_inv scope:SCOPE_SE
	s_clause 0x1
	global_load_b128 v[52:55], v109, s[10:11] offset:448
	global_load_b128 v[48:51], v48, s[10:11] offset:448
	v_add_nc_u32_e32 v115, 0x400, v130
	ds_load_2addr_b32 v[56:57], v130 offset0:238 offset1:255
	ds_load_2addr_b32 v[70:71], v115 offset0:220 offset1:237
	;; [unrolled: 1-line block ×5, first 2 shown]
	v_lshl_add_u32 v164, v186, 2, v200
	s_add_nc_u64 s[0:1], s[8:9], 0x94c
	s_wait_dscnt 0x4
	v_lshrrev_b32_e32 v62, 16, v56
	v_lshrrev_b32_e32 v72, 16, v57
	s_wait_dscnt 0x3
	v_lshrrev_b32_e32 v73, 16, v70
	v_lshrrev_b32_e32 v95, 16, v71
	s_wait_dscnt 0x0
	v_lshrrev_b32_e32 v101, 16, v98
	s_wait_loadcnt 0x1
	v_lshrrev_b32_e32 v204, 16, v53
	s_wait_loadcnt 0x0
	v_lshrrev_b32_e32 v201, 16, v49
	v_lshrrev_b32_e32 v203, 16, v55
	;; [unrolled: 1-line block ×4, first 2 shown]
	v_mul_f16_e64 v58, v62, v204
	v_mul_f16_e64 v60, v72, v201
	;; [unrolled: 1-line block ×4, first 2 shown]
	v_lshrrev_b32_e32 v205, 16, v48
	v_mul_f16_e64 v59, v56, v204
	v_fma_f16 v61, v56, v53, -v58
	v_fma_f16 v68, v57, v49, -v60
	v_mul_f16_e64 v67, v57, v201
	v_mul_f16_e64 v58, v70, v203
	v_fma_f16 v60, v70, v55, -v69
	v_fma_f16 v70, v71, v51, -v96
	v_mul_f16_e64 v69, v71, v185
	v_lshrrev_b32_e32 v56, 16, v63
	v_mul_f16_e64 v71, v63, v202
	v_lshrrev_b32_e32 v57, 16, v65
	v_mul_f16_e64 v110, v65, v205
	v_fmac_f16_e32 v59, v62, v53
	v_fmac_f16_e32 v67, v72, v49
	;; [unrolled: 1-line block ×3, first 2 shown]
	v_mul_f16_e64 v56, v56, v202
	v_fmac_f16_e32 v110, v57, v48
	v_mul_f16_e64 v57, v57, v205
	v_fmac_f16_e32 v58, v73, v55
	v_fmac_f16_e32 v69, v95, v51
	v_fma_f16 v111, v63, v50, -v56
	v_lshrrev_b32_e32 v207, 16, v52
	v_fma_f16 v65, v65, v48, -v57
	ds_load_2addr_b32 v[56:57], v130 offset1:17
	v_sub_f16_e32 v95, v71, v69
	v_add_f16_e32 v62, v68, v111
	v_sub_f16_e32 v73, v111, v70
	v_add_f16_e32 v72, v65, v70
	v_sub_f16_e32 v120, v67, v71
	v_sub_f16_e32 v119, v68, v111
	v_lshrrev_b32_e32 v206, 16, v54
	v_sub_f16_e32 v122, v110, v69
	v_sub_f16_e32 v121, v65, v70
	s_delay_alu instid0(VALU_DEP_3) | instskip(SKIP_1) | instid1(VALU_DEP_2)
	v_mul_f16_e64 v100, v98, v206
	v_mul_f16_e64 v108, v101, v206
	v_fmac_f16_e32 v100, v101, v54
	s_delay_alu instid0(VALU_DEP_2)
	v_fma_f16 v98, v98, v54, -v108
	s_wait_dscnt 0x0
	v_fma_f16 v112, -0.5, v62, v57
	v_lshrrev_b32_e32 v63, 16, v57
	v_add_f16_e32 v62, v57, v65
	v_fmac_f16_e32 v57, -0.5, v72
	v_sub_f16_e32 v72, v68, v65
	v_sub_f16_e32 v108, v60, v98
	;; [unrolled: 1-line block ×4, first 2 shown]
	v_fmamk_f16 v117, v120, 0xbb9c, v57
	v_add_f16_e32 v113, v72, v73
	v_add_f16_e32 v72, v67, v71
	;; [unrolled: 1-line block ×3, first 2 shown]
	v_fmac_f16_e32 v57, 0x3b9c, v120
	v_sub_f16_e32 v127, v100, v58
	v_sub_f16_e32 v65, v65, v68
	v_fma_f16 v114, -0.5, v72, v63
	v_add_f16_e32 v72, v63, v110
	v_fmac_f16_e32 v63, -0.5, v73
	v_sub_f16_e32 v73, v67, v110
	v_fmac_f16_e32 v57, 0xb8b4, v122
	v_fmac_f16_e32 v117, 0x38b4, v122
	s_delay_alu instid0(VALU_DEP_4) | instskip(NEXT) | instid1(VALU_DEP_4)
	v_fmamk_f16 v118, v119, 0x3b9c, v63
	v_add_f16_e32 v116, v73, v95
	ds_load_2addr_b32 v[95:96], v130 offset0:102 offset1:119
	v_fmac_f16_e32 v63, 0xbb9c, v119
	v_fmac_f16_e32 v57, 0x34f2, v113
	;; [unrolled: 1-line block ×4, first 2 shown]
	s_delay_alu instid0(VALU_DEP_4) | instskip(NEXT) | instid1(VALU_DEP_2)
	v_fmac_f16_e32 v63, 0x38b4, v121
	v_fmac_f16_e32 v118, 0x34f2, v116
	s_delay_alu instid0(VALU_DEP_2) | instskip(NEXT) | instid1(VALU_DEP_1)
	v_fmac_f16_e32 v63, 0x34f2, v116
	v_pack_b32_f16 v128, v57, v63
	v_lshrrev_b32_e32 v57, 16, v56
	s_wait_dscnt 0x0
	v_lshrrev_b32_e32 v73, 16, v96
	v_mul_f16_e64 v99, v96, v207
	s_delay_alu instid0(VALU_DEP_1) | instskip(SKIP_1) | instid1(VALU_DEP_2)
	v_fmac_f16_e32 v99, v73, v52
	v_mul_f16_e64 v73, v73, v207
	v_add_f16_e32 v126, v57, v99
	s_delay_alu instid0(VALU_DEP_2) | instskip(SKIP_2) | instid1(VALU_DEP_3)
	v_fma_f16 v101, v96, v52, -v73
	v_add_f16_e32 v73, v61, v98
	v_add_f16_e32 v125, v99, v58
	;; [unrolled: 1-line block ×3, first 2 shown]
	v_sub_f16_e32 v63, v101, v61
	s_delay_alu instid0(VALU_DEP_4) | instskip(NEXT) | instid1(VALU_DEP_3)
	v_fma_f16 v73, -0.5, v73, v56
	v_fma_f16 v96, -0.5, v96, v56
	v_add_f16_e32 v56, v56, v101
	s_delay_alu instid0(VALU_DEP_4) | instskip(SKIP_1) | instid1(VALU_DEP_3)
	v_add_f16_e32 v63, v63, v108
	v_sub_f16_e32 v108, v61, v101
	v_add_f16_e32 v56, v56, v61
	v_sub_f16_e32 v61, v61, v98
	s_delay_alu instid0(VALU_DEP_3) | instskip(SKIP_1) | instid1(VALU_DEP_4)
	v_add_f16_e32 v108, v108, v123
	v_sub_f16_e32 v123, v99, v59
	v_add_f16_e32 v56, v56, v98
	v_add_f16_e32 v98, v126, v59
	s_delay_alu instid0(VALU_DEP_3) | instskip(SKIP_1) | instid1(VALU_DEP_4)
	v_add_f16_e32 v123, v123, v124
	v_add_f16_e32 v124, v59, v100
	;; [unrolled: 1-line block ×3, first 2 shown]
	s_delay_alu instid0(VALU_DEP_4) | instskip(NEXT) | instid1(VALU_DEP_3)
	v_add_f16_e32 v98, v98, v100
	v_fma_f16 v124, -0.5, v124, v57
	v_fmac_f16_e32 v57, -0.5, v125
	v_sub_f16_e32 v125, v59, v99
	v_sub_f16_e32 v59, v59, v100
	;; [unrolled: 1-line block ×4, first 2 shown]
	v_add_f16_e32 v58, v98, v58
	v_add_f16_e32 v125, v125, v127
	v_fmamk_f16 v101, v59, 0xbb9c, v96
	v_fmac_f16_e32 v96, 0x3b9c, v59
	v_fmamk_f16 v99, v60, 0x3b9c, v73
	v_fmac_f16_e32 v73, 0xbb9c, v60
	v_pack_b32_f16 v56, v56, v58
	v_fmac_f16_e32 v101, 0x38b4, v60
	v_fmac_f16_e32 v96, 0xb8b4, v60
	v_fmac_f16_e32 v99, 0x38b4, v59
	v_fmac_f16_e32 v73, 0xb8b4, v59
	v_fmamk_f16 v59, v100, 0xbb9c, v124
	v_fmac_f16_e32 v124, 0x3b9c, v100
	v_fmamk_f16 v60, v61, 0x3b9c, v57
	v_fmac_f16_e32 v57, 0xbb9c, v61
	v_add_f16_e32 v58, v62, v68
	v_fmac_f16_e32 v59, 0xb8b4, v61
	v_fmac_f16_e32 v124, 0x38b4, v61
	v_add_f16_e32 v61, v72, v67
	v_fmac_f16_e32 v60, 0xb8b4, v100
	;; [unrolled: 3-line block ×3, first 2 shown]
	v_add_f16_e32 v61, v61, v71
	v_fmac_f16_e32 v59, 0x34f2, v123
	v_fmac_f16_e32 v101, 0x34f2, v108
	;; [unrolled: 1-line block ×7, first 2 shown]
	v_add_f16_e32 v58, v58, v70
	v_add_f16_e32 v61, v61, v69
	v_pack_b32_f16 v59, v99, v59
	v_pack_b32_f16 v60, v101, v60
	;; [unrolled: 1-line block ×3, first 2 shown]
	v_add_nc_u32_e32 v108, 0x600, v130
	v_pack_b32_f16 v58, v58, v61
	v_pack_b32_f16 v61, v73, v124
	v_add_nc_u32_e32 v96, 0x800, v130
	ds_load_b32 v123, v130 offset:2312
	ds_load_2addr_b32 v[124:125], v130 offset0:34 offset1:51
	ds_load_2addr_b32 v[126:127], v130 offset0:170 offset1:187
	;; [unrolled: 1-line block ×10, first 2 shown]
	ds_store_b32 v164, v59 offset:476
	ds_store_b32 v164, v60 offset:952
	;; [unrolled: 1-line block ×4, first 2 shown]
	ds_store_2addr_b32 v130, v56, v58 offset1:17
	v_lshlrev_b32_e32 v56, 4, v74
	v_lshlrev_b32_e32 v57, 4, v107
	s_clause 0x1
	global_load_b128 v[60:63], v56, s[10:11] offset:448
	global_load_b128 v[56:59], v57, s[10:11] offset:448
	v_lshrrev_b32_e32 v74, 16, v66
	v_sub_f16_e32 v68, v70, v111
	v_sub_f16_e32 v69, v69, v71
	;; [unrolled: 1-line block ×3, first 2 shown]
	s_delay_alu instid0(VALU_DEP_3)
	v_add_f16_e32 v65, v65, v68
	s_wait_dscnt 0xa
	v_lshrrev_b32_e32 v139, 16, v142
	s_wait_dscnt 0x9
	v_lshrrev_b32_e32 v150, 16, v153
	;; [unrolled: 2-line block ×3, first 2 shown]
	v_lshrrev_b32_e32 v135, 16, v141
	v_lshrrev_b32_e32 v146, 16, v152
	v_add_f16_e32 v67, v67, v69
	v_fmamk_f16 v69, v121, 0xbb9c, v114
	v_fmac_f16_e32 v114, 0x3b9c, v121
	v_fmamk_f16 v68, v122, 0x3b9c, v112
	v_fmac_f16_e32 v112, 0xbb9c, v122
	s_delay_alu instid0(VALU_DEP_4) | instskip(NEXT) | instid1(VALU_DEP_4)
	v_fmac_f16_e32 v69, 0xb8b4, v119
	v_fmac_f16_e32 v114, 0x38b4, v119
	s_delay_alu instid0(VALU_DEP_4) | instskip(NEXT) | instid1(VALU_DEP_4)
	v_fmac_f16_e32 v68, 0x38b4, v120
	;; [unrolled: 3-line block ×4, first 2 shown]
	v_fmac_f16_e32 v112, 0x34f2, v65
	s_wait_loadcnt 0x1
	v_lshrrev_b32_e32 v170, 16, v60
	s_wait_loadcnt 0x0
	v_lshrrev_b32_e32 v211, 16, v58
	v_lshrrev_b32_e32 v210, 16, v62
	;; [unrolled: 1-line block ×4, first 2 shown]
	v_mul_f16_e64 v107, v74, v170
	v_mul_f16_e64 v71, v154, v211
	v_lshrrev_b32_e32 v209, 16, v59
	v_mul_f16_e64 v144, v139, v208
	v_mul_f16_e64 v110, v126, v213
	v_fma_f16 v131, v66, v60, -v107
	v_mul_f16_e64 v66, v66, v170
	v_lshrrev_b32_e32 v107, 16, v64
	v_fmac_f16_e32 v71, v70, v58
	v_mul_f16_e64 v70, v70, v211
	v_lshrrev_b32_e32 v212, 16, v61
	v_fmac_f16_e32 v66, v74, v60
	v_mul_f16_e64 v133, v107, v210
	v_lshrrev_b32_e32 v74, 16, v126
	v_fma_f16 v144, v142, v57, -v144
	v_mul_f16_e64 v160, v150, v209
	v_fma_f16 v70, v154, v58, -v70
	v_fma_f16 v133, v64, v62, -v133
	v_mul_f16_e64 v64, v64, v210
	v_fmac_f16_e32 v110, v74, v56
	v_mul_f16_e64 v74, v74, v213
	v_mul_f16_e64 v137, v135, v212
	v_fma_f16 v160, v153, v59, -v160
	v_fmac_f16_e32 v64, v107, v62
	v_add_f16_e64 v107, v144, v70
	v_fma_f16 v74, v126, v56, -v74
	v_fma_f16 v137, v141, v61, -v137
	v_mul_f16_e64 v141, v141, v212
	v_mul_f16_e64 v142, v142, v208
	v_lshrrev_b32_e32 v172, 16, v63
	v_fma_f16 v111, -0.5, v107, v125
	v_add_f16_e64 v107, v74, v160
	v_mul_f16_e64 v153, v153, v209
	v_fmac_f16_e64 v141, v135, v61
	v_mul_f16_e64 v148, v146, v172
	v_fmac_f16_e64 v142, v139, v57
	v_lshrrev_b32_e32 v126, 16, v125
	v_add_f16_e64 v135, v125, v74
	v_fmac_f16_e32 v125, -0.5, v107
	v_sub_f16_e64 v107, v144, v74
	v_sub_f16_e64 v139, v70, v160
	v_fma_f16 v148, v152, v63, -v148
	v_mul_f16_e64 v152, v152, v172
	v_fmac_f16_e64 v153, v150, v59
	v_add_f16_e64 v150, v126, v110
	v_add_f16_e64 v139, v107, v139
	v_add_f16_e64 v107, v142, v71
	v_fmac_f16_e64 v152, v146, v63
	v_sub_f16_e64 v161, v142, v71
	v_sub_f16_e64 v163, v144, v70
	;; [unrolled: 1-line block ×3, first 2 shown]
	v_fma_f16 v146, -0.5, v107, v126
	v_add_f16_e64 v107, v110, v153
	v_fma_f16 v162, 0xbb9c, v161, v125
	v_fmac_f16_e64 v125, 0x3b9c, v161
	v_sub_f16_e64 v167, v110, v153
	v_sub_f16_e64 v169, v74, v160
	v_fmac_f16_e32 v126, -0.5, v107
	v_sub_f16_e64 v107, v142, v110
	v_add_f16_e64 v168, v131, v148
	v_fmac_f16_e64 v125, 0xb8b4, v167
	v_add_f16_e64 v113, v150, v142
	v_fma_f16 v165, 0x3b9c, v163, v126
	v_fmac_f16_e64 v126, 0xbb9c, v163
	v_add_f16_e64 v154, v107, v154
	v_fmac_f16_e64 v125, 0x34f2, v139
	v_add_f16_e64 v107, v137, v133
	v_fma_f16 v168, -0.5, v168, v124
	v_fmac_f16_e64 v126, 0x38b4, v169
	v_add_f16_e32 v113, v113, v71
	v_sub_f16_e64 v116, v66, v152
	v_fma_f16 v107, -0.5, v107, v124
	v_sub_f16_e64 v119, v137, v133
	v_fmac_f16_e64 v126, 0x34f2, v154
	v_add_f16_e64 v113, v113, v153
	v_fmac_f16_e64 v162, 0x38b4, v167
	v_fmac_f16_e64 v165, 0xb8b4, v169
	s_delay_alu instid0(VALU_DEP_4) | instskip(SKIP_4) | instid1(VALU_DEP_4)
	v_pack_b32_f16 v125, v125, v126
	v_lshrrev_b32_e32 v126, 16, v124
	v_add_f16_e64 v124, v124, v131
	v_fmac_f16_e64 v162, 0x34f2, v139
	v_fmac_f16_e64 v165, 0x34f2, v154
	v_add_f16_e32 v67, v126, v66
	s_delay_alu instid0(VALU_DEP_4) | instskip(NEXT) | instid1(VALU_DEP_2)
	v_add_f16_e64 v65, v124, v137
	v_add_f16_e64 v67, v67, v141
	s_delay_alu instid0(VALU_DEP_2) | instskip(NEXT) | instid1(VALU_DEP_2)
	v_add_f16_e64 v65, v65, v133
	v_add_f16_e32 v67, v67, v64
	s_delay_alu instid0(VALU_DEP_2) | instskip(NEXT) | instid1(VALU_DEP_2)
	v_add_f16_e64 v65, v65, v148
	v_add_f16_e64 v67, v67, v152
	s_delay_alu instid0(VALU_DEP_1)
	v_pack_b32_f16 v65, v65, v67
	v_pack_b32_f16 v67, v68, v69
	;; [unrolled: 1-line block ×3, first 2 shown]
	v_add_f16_e64 v112, v135, v144
	v_pack_b32_f16 v68, v117, v118
	v_sub_f16_e64 v118, v131, v148
	v_sub_f16_e64 v117, v141, v64
	s_delay_alu instid0(VALU_DEP_4) | instskip(NEXT) | instid1(VALU_DEP_2)
	v_add_f16_e32 v112, v112, v70
	v_fma_f16 v122, 0xbb9c, v117, v168
	v_fmac_f16_e64 v168, 0x3b9c, v117
	s_delay_alu instid0(VALU_DEP_3) | instskip(NEXT) | instid1(VALU_DEP_3)
	v_add_f16_e64 v112, v112, v160
	v_fmac_f16_e32 v122, 0x38b4, v116
	s_delay_alu instid0(VALU_DEP_3) | instskip(NEXT) | instid1(VALU_DEP_3)
	v_fmac_f16_e64 v168, 0xb8b4, v116
	v_pack_b32_f16 v112, v112, v113
	ds_store_b32 v164, v67 offset:544
	ds_store_b32 v164, v68 offset:1020
	;; [unrolled: 1-line block ×4, first 2 shown]
	ds_store_2addr_b32 v130, v65, v112 offset0:34 offset1:51
	v_sub_f16_e64 v65, v74, v144
	v_sub_f16_e64 v67, v160, v70
	;; [unrolled: 1-line block ×6, first 2 shown]
	v_add_f16_e32 v74, v65, v67
	v_add_f16_e64 v65, v141, v64
	s_delay_alu instid0(VALU_DEP_4) | instskip(SKIP_2) | instid1(VALU_DEP_4)
	v_add_f16_e32 v110, v70, v71
	v_sub_f16_e64 v70, v66, v141
	v_sub_f16_e64 v71, v152, v64
	v_fma_f16 v114, -0.5, v65, v126
	v_fmamk_f16 v65, v116, 0x3b9c, v107
	v_add_f16_e32 v113, v68, v69
	v_fma_f16 v68, 0xbb9c, v169, v146
	v_add_f16_e32 v112, v70, v71
	v_fmamk_f16 v67, v118, 0xbb9c, v114
	v_fmac_f16_e32 v65, 0x38b4, v117
	v_sub_f16_e64 v64, v64, v152
	v_fmac_f16_e64 v68, 0xb8b4, v163
	v_fmac_f16_e64 v146, 0x3b9c, v169
	v_fmac_f16_e32 v67, 0xb8b4, v119
	v_fmac_f16_e32 v65, 0x34f2, v110
	;; [unrolled: 1-line block ×4, first 2 shown]
	v_fmac_f16_e64 v146, 0x38b4, v163
	v_fmac_f16_e32 v67, 0x34f2, v112
	v_fmac_f16_e32 v114, 0x3b9c, v118
	;; [unrolled: 1-line block ×3, first 2 shown]
	s_delay_alu instid0(VALU_DEP_4) | instskip(NEXT) | instid1(VALU_DEP_4)
	v_fmac_f16_e64 v146, 0x34f2, v113
	v_pack_b32_f16 v65, v65, v67
	v_fma_f16 v67, 0x3b9c, v167, v111
	v_fmac_f16_e64 v111, 0xbb9c, v167
	v_fmac_f16_e32 v114, 0x38b4, v119
	v_fmac_f16_e32 v107, 0x34f2, v110
	s_delay_alu instid0(VALU_DEP_4) | instskip(NEXT) | instid1(VALU_DEP_4)
	v_fmac_f16_e64 v67, 0x38b4, v161
	v_fmac_f16_e64 v111, 0xb8b4, v161
	s_delay_alu instid0(VALU_DEP_4) | instskip(NEXT) | instid1(VALU_DEP_3)
	v_fmac_f16_e32 v114, 0x34f2, v112
	v_fmac_f16_e32 v67, 0x34f2, v74
	s_delay_alu instid0(VALU_DEP_3) | instskip(NEXT) | instid1(VALU_DEP_2)
	v_fmac_f16_e32 v111, 0x34f2, v74
	v_pack_b32_f16 v67, v67, v68
	v_sub_f16_e64 v68, v141, v66
	v_add_f16_e64 v66, v66, v152
	s_delay_alu instid0(VALU_DEP_4)
	v_pack_b32_f16 v111, v111, v146
	ds_store_2addr_b32 v130, v65, v67 offset0:153 offset1:170
	v_sub_f16_e64 v65, v137, v131
	v_fmac_f16_e32 v126, -0.5, v66
	v_sub_f16_e64 v67, v133, v148
	v_add_f16_e32 v121, v68, v64
	s_wait_dscnt 0xc
	v_lshrrev_b32_e32 v133, 16, v158
	v_fmamk_f16 v124, v119, 0x3b9c, v126
	v_fmac_f16_e32 v126, 0xbb9c, v119
	v_add_f16_e32 v120, v65, v67
	v_add_nc_u32_e32 v65, 0x550, v109
	s_delay_alu instid0(VALU_DEP_4) | instskip(NEXT) | instid1(VALU_DEP_4)
	v_fmac_f16_e32 v124, 0xb8b4, v118
	v_fmac_f16_e32 v126, 0x38b4, v118
	s_delay_alu instid0(VALU_DEP_4) | instskip(SKIP_1) | instid1(VALU_DEP_4)
	v_fmac_f16_e64 v168, 0x34f2, v120
	v_fmac_f16_e32 v122, 0x34f2, v120
	v_fmac_f16_e32 v124, 0x34f2, v121
	s_delay_alu instid0(VALU_DEP_4) | instskip(NEXT) | instid1(VALU_DEP_2)
	v_fmac_f16_e32 v126, 0x34f2, v121
	v_pack_b32_f16 v122, v122, v124
	s_delay_alu instid0(VALU_DEP_2)
	v_pack_b32_f16 v64, v168, v126
	ds_store_2addr_b32 v115, v64, v125 offset0:135 offset1:152
	v_lshlrev_b32_e32 v64, 4, v75
	s_clause 0x1
	global_load_b128 v[68:71], v64, s[10:11] offset:448
	global_load_b128 v[64:67], v65, s[10:11] offset:448
	v_lshrrev_b32_e32 v75, 16, v127
	s_wait_loadcnt 0x1
	v_lshrrev_b32_e32 v174, 16, v68
	v_lshrrev_b32_e32 v168, 16, v70
	;; [unrolled: 1-line block ×4, first 2 shown]
	s_wait_loadcnt 0x0
	v_lshrrev_b32_e32 v215, 16, v67
	v_mul_f16_e64 v125, v75, v174
	v_mul_f16_e64 v126, v127, v174
	;; [unrolled: 1-line block ×4, first 2 shown]
	v_lshrrev_b32_e32 v76, 16, v65
	v_fma_f16 v125, v127, v68, -v125
	v_lshrrev_b32_e32 v127, 16, v155
	v_fmac_f16_e32 v126, v75, v68
	v_lshrrev_b32_e32 v75, 16, v156
	v_fmac_f16_e64 v135, v133, v71
	v_mul_f16_e64 v133, v133, v176
	v_mul_f16_e64 v128, v127, v168
	v_fmac_f16_e64 v131, v127, v70
	v_mul_f16_e64 v127, v156, v214
	v_add_f16_e64 v142, v126, v135
	v_fma_f16 v133, v158, v71, -v133
	v_fma_f16 v128, v155, v70, -v128
	v_sub_f16_e64 v148, v131, v135
	v_fmac_f16_e32 v127, v75, v69
	v_mul_f16_e64 v75, v75, v214
	v_add_f16_e64 v150, v125, v133
	v_sub_f16_e64 v139, v128, v133
	v_sub_f16_e64 v153, v126, v135
	v_add_f16_e64 v141, v127, v131
	v_fma_f16 v75, v156, v69, -v75
	v_fma_f16 v150, -0.5, v150, v72
	v_sub_f16_e64 v152, v127, v131
	v_sub_f16_e64 v156, v125, v133
	;; [unrolled: 1-line block ×5, first 2 shown]
	v_fma_f16 v154, 0xbb9c, v152, v150
	v_sub_f16_e32 v74, v125, v75
	v_lshrrev_b32_e32 v190, 16, v66
	v_add_f16_e64 v137, v137, v139
	v_lshrrev_b32_e32 v139, 16, v72
	v_fmac_f16_e64 v154, 0x38b4, v153
	v_add_f16_e32 v74, v74, v113
	v_sub_f16_e32 v113, v126, v127
	v_fmac_f16_e64 v150, 0x3b9c, v152
	v_fma_f16 v141, -0.5, v141, v139
	v_add_f16_e64 v144, v139, v126
	v_fmac_f16_e64 v139, -0.5, v142
	v_sub_f16_e64 v142, v127, v126
	v_sub_f16_e64 v126, v135, v131
	v_fmac_f16_e64 v154, 0x34f2, v137
	v_fmac_f16_e64 v150, 0xb8b4, v153
	v_fma_f16 v158, 0x3b9c, v155, v139
	v_add_f16_e64 v142, v142, v148
	v_add_f16_e32 v113, v113, v126
	v_add_f16_e64 v126, v75, v128
	v_pack_b32_f16 v148, v162, v165
	v_fmac_f16_e64 v158, 0xb8b4, v156
	v_fmac_f16_e64 v139, 0xbb9c, v155
	;; [unrolled: 1-line block ×3, first 2 shown]
	v_fma_f16 v126, -0.5, v126, v72
	v_add_f16_e32 v72, v72, v125
	v_fmac_f16_e64 v158, 0x34f2, v142
	v_fmac_f16_e64 v139, 0x38b4, v156
	s_delay_alu instid0(VALU_DEP_4) | instskip(SKIP_1) | instid1(VALU_DEP_4)
	v_fma_f16 v146, 0x3b9c, v153, v126
	v_fmac_f16_e64 v126, 0xbb9c, v153
	v_pack_b32_f16 v154, v154, v158
	v_add_f16_e32 v72, v72, v75
	v_add_f16_e64 v75, v144, v127
	v_lshrrev_b32_e32 v127, 16, v159
	v_fmac_f16_e64 v126, 0xb8b4, v152
	ds_store_2addr_b32 v115, v148, v154 offset0:33 offset1:50
	v_fma_f16 v148, 0xbb9c, v156, v141
	v_fmac_f16_e64 v141, 0x3b9c, v156
	v_add_f16_e64 v72, v72, v128
	v_fmac_f16_e32 v126, 0x34f2, v74
	v_add_f16_e64 v75, v75, v131
	v_mul_f16_e64 v131, v159, v215
	v_fmac_f16_e64 v141, 0x38b4, v155
	v_mul_f16_e64 v128, v127, v215
	v_add_f16_e64 v72, v72, v133
	v_add_f16_e64 v75, v75, v135
	v_fmac_f16_e64 v131, v127, v67
	v_fmac_f16_e64 v141, 0x34f2, v113
	v_lshrrev_b32_e32 v127, 16, v64
	s_wait_dscnt 0xd
	v_mul_f16_e64 v133, v98, v190
	v_pack_b32_f16 v72, v72, v75
	v_lshrrev_b32_e32 v75, 16, v100
	v_pack_b32_f16 v126, v126, v141
	v_fma_f16 v128, v159, v67, -v128
	v_fmac_f16_e64 v146, 0x38b4, v152
	v_fmac_f16_e64 v148, 0xb8b4, v155
	;; [unrolled: 1-line block ×3, first 2 shown]
	ds_store_2addr_b32 v96, v111, v126 offset0:15 offset1:32
	v_lshrrev_b32_e32 v111, 16, v157
	v_mul_f16_e64 v126, v157, v76
	v_fmac_f16_e64 v146, 0x34f2, v74
	v_fmac_f16_e64 v148, 0x34f2, v113
	v_lshrrev_b32_e32 v142, 16, v95
	v_mul_f16_e32 v125, v111, v76
	v_fmac_f16_e32 v126, v111, v65
	v_mul_f16_e32 v111, v100, v127
	s_delay_alu instid0(VALU_DEP_3) | instskip(NEXT) | instid1(VALU_DEP_2)
	v_fma_f16 v125, v157, v65, -v125
	v_fmac_f16_e32 v111, v75, v64
	v_mul_f16_e32 v75, v75, v127
	v_lshrrev_b32_e32 v127, 16, v98
	s_delay_alu instid0(VALU_DEP_3) | instskip(NEXT) | instid1(VALU_DEP_3)
	v_sub_f16_e64 v141, v111, v131
	v_fma_f16 v75, v100, v64, -v75
	s_delay_alu instid0(VALU_DEP_3) | instskip(SKIP_1) | instid1(VALU_DEP_3)
	v_fmac_f16_e64 v133, v127, v66
	v_mul_f16_e64 v127, v127, v190
	v_add_f16_e32 v100, v73, v75
	s_delay_alu instid0(VALU_DEP_3) | instskip(NEXT) | instid1(VALU_DEP_3)
	v_sub_f16_e64 v144, v126, v133
	v_fma_f16 v98, v98, v66, -v127
	v_lshrrev_b32_e32 v127, 16, v73
	s_delay_alu instid0(VALU_DEP_4) | instskip(NEXT) | instid1(VALU_DEP_3)
	v_add_f16_e32 v100, v100, v125
	v_sub_f16_e64 v74, v128, v98
	s_delay_alu instid0(VALU_DEP_3) | instskip(SKIP_1) | instid1(VALU_DEP_4)
	v_add_f16_e64 v135, v127, v111
	v_sub_f16_e64 v157, v125, v98
	v_add_f16_e32 v100, v100, v98
	s_delay_alu instid0(VALU_DEP_3) | instskip(NEXT) | instid1(VALU_DEP_2)
	v_add_f16_e64 v135, v135, v126
	v_add_f16_e64 v100, v100, v128
	s_delay_alu instid0(VALU_DEP_2) | instskip(NEXT) | instid1(VALU_DEP_1)
	v_add_f16_e64 v135, v135, v133
	v_add_f16_e64 v135, v135, v131
	s_delay_alu instid0(VALU_DEP_1) | instskip(SKIP_2) | instid1(VALU_DEP_1)
	v_pack_b32_f16 v100, v100, v135
	ds_store_2addr_b32 v130, v72, v100 offset0:68 offset1:85
	v_sub_f16_e32 v72, v75, v125
	v_add_f16_e32 v100, v72, v74
	v_sub_f16_e32 v72, v111, v126
	v_sub_f16_e64 v74, v131, v133
	s_delay_alu instid0(VALU_DEP_1) | instskip(SKIP_4) | instid1(VALU_DEP_3)
	v_add_f16_e32 v113, v72, v74
	v_pack_b32_f16 v72, v146, v148
	v_add_f16_e32 v74, v125, v98
	v_add_f16_e64 v146, v126, v133
	v_sub_f16_e64 v148, v75, v128
	v_fma_f16 v135, -0.5, v74, v73
	s_delay_alu instid0(VALU_DEP_3) | instskip(NEXT) | instid1(VALU_DEP_2)
	v_fma_f16 v146, -0.5, v146, v127
	v_fma_f16 v74, 0x3b9c, v141, v135
	s_delay_alu instid0(VALU_DEP_2) | instskip(SKIP_2) | instid1(VALU_DEP_4)
	v_fma_f16 v154, 0xbb9c, v148, v146
	v_fmac_f16_e64 v135, 0xbb9c, v141
	v_fmac_f16_e64 v146, 0x3b9c, v148
	;; [unrolled: 1-line block ×3, first 2 shown]
	s_delay_alu instid0(VALU_DEP_4) | instskip(NEXT) | instid1(VALU_DEP_4)
	v_fmac_f16_e64 v154, 0xb8b4, v157
	v_fmac_f16_e64 v135, 0xb8b4, v144
	s_delay_alu instid0(VALU_DEP_4) | instskip(NEXT) | instid1(VALU_DEP_4)
	v_fmac_f16_e64 v146, 0x38b4, v157
	v_fmac_f16_e32 v74, 0x34f2, v100
	s_delay_alu instid0(VALU_DEP_4) | instskip(NEXT) | instid1(VALU_DEP_4)
	v_fmac_f16_e64 v154, 0x34f2, v113
	v_fmac_f16_e64 v135, 0x34f2, v100
	s_delay_alu instid0(VALU_DEP_4) | instskip(NEXT) | instid1(VALU_DEP_3)
	v_fmac_f16_e64 v146, 0x34f2, v113
	v_pack_b32_f16 v74, v74, v154
	ds_store_2addr_b32 v130, v72, v74 offset0:187 offset1:204
	v_sub_f16_e32 v72, v125, v75
	v_add_f16_e64 v74, v75, v128
	v_sub_f16_e64 v75, v98, v128
	v_sub_f16_e32 v98, v126, v111
	v_add_f16_e64 v111, v111, v131
	v_sub_f16_e64 v125, v133, v131
	v_fmac_f16_e32 v73, -0.5, v74
	s_delay_alu instid0(VALU_DEP_3) | instskip(NEXT) | instid1(VALU_DEP_3)
	v_fmac_f16_e32 v127, -0.5, v111
	v_add_f16_e32 v98, v98, v125
	s_delay_alu instid0(VALU_DEP_3)
	v_fma_f16 v125, 0xbb9c, v144, v73
	v_fmac_f16_e64 v73, 0x3b9c, v144
	v_add_f16_e32 v111, v72, v75
	v_fma_f16 v126, 0x3b9c, v157, v127
	v_fmac_f16_e64 v127, 0xbb9c, v157
	v_fmac_f16_e64 v125, 0x38b4, v141
	;; [unrolled: 1-line block ×3, first 2 shown]
	s_delay_alu instid0(VALU_DEP_4) | instskip(NEXT) | instid1(VALU_DEP_4)
	v_fmac_f16_e64 v126, 0xb8b4, v148
	v_fmac_f16_e64 v127, 0x38b4, v148
	s_delay_alu instid0(VALU_DEP_4) | instskip(NEXT) | instid1(VALU_DEP_4)
	v_fmac_f16_e32 v125, 0x34f2, v111
	v_fmac_f16_e32 v73, 0x34f2, v111
	s_delay_alu instid0(VALU_DEP_4) | instskip(NEXT) | instid1(VALU_DEP_4)
	v_fmac_f16_e32 v126, 0x34f2, v98
	v_fmac_f16_e32 v127, 0x34f2, v98
	s_delay_alu instid0(VALU_DEP_1)
	v_pack_b32_f16 v72, v73, v127
	v_pack_b32_f16 v73, v150, v139
	ds_store_2addr_b32 v115, v73, v72 offset0:169 offset1:186
	v_add_nc_u32_e32 v72, 0x660, v109
	v_lshrrev_b32_e32 v109, 16, v101
	global_load_b128 v[72:75], v72, s[10:11] offset:448
	s_wait_loadcnt 0x0
	v_lshrrev_b32_e32 v128, 16, v72
	v_lshrrev_b32_e32 v133, 16, v73
	;; [unrolled: 1-line block ×3, first 2 shown]
	s_delay_alu instid0(VALU_DEP_3) | instskip(NEXT) | instid1(VALU_DEP_1)
	v_mul_f16_e64 v127, v109, v128
	v_fma_f16 v127, v101, v72, -v127
	v_mul_f16_e64 v101, v101, v128
	v_lshrrev_b32_e32 v128, 16, v97
	s_delay_alu instid0(VALU_DEP_3) | instskip(NEXT) | instid1(VALU_DEP_3)
	v_add_f16_e32 v111, v95, v127
	v_fmac_f16_e32 v101, v109, v72
	s_delay_alu instid0(VALU_DEP_3) | instskip(SKIP_1) | instid1(VALU_DEP_2)
	v_mul_f16_e64 v131, v128, v133
	v_mul_f16_e64 v133, v97, v133
	v_fma_f16 v131, v97, v73, -v131
	v_lshrrev_b32_e32 v97, 16, v99
	s_delay_alu instid0(VALU_DEP_3) | instskip(SKIP_1) | instid1(VALU_DEP_3)
	v_fmac_f16_e64 v133, v128, v73
	v_lshrrev_b32_e32 v128, 16, v75
	v_mul_f16_e64 v137, v97, v139
	s_delay_alu instid0(VALU_DEP_1) | instskip(SKIP_1) | instid1(VALU_DEP_2)
	v_fma_f16 v137, v99, v74, -v137
	v_mul_f16_e64 v99, v99, v139
	v_sub_f16_e64 v154, v131, v137
	s_delay_alu instid0(VALU_DEP_2) | instskip(SKIP_1) | instid1(VALU_DEP_2)
	v_fmac_f16_e32 v99, v97, v74
	v_lshrrev_b32_e32 v97, 16, v123
	v_add_f16_e64 v150, v133, v99
	s_delay_alu instid0(VALU_DEP_2) | instskip(SKIP_1) | instid1(VALU_DEP_3)
	v_mul_f16_e64 v109, v97, v128
	v_sub_f16_e64 v139, v133, v99
	v_fma_f16 v150, -0.5, v150, v142
	s_delay_alu instid0(VALU_DEP_3) | instskip(SKIP_1) | instid1(VALU_DEP_2)
	v_fma_f16 v109, v123, v75, -v109
	v_mul_f16_e64 v123, v123, v128
	v_sub_f16_e64 v120, v109, v137
	s_delay_alu instid0(VALU_DEP_2) | instskip(SKIP_3) | instid1(VALU_DEP_4)
	v_fmac_f16_e32 v123, v97, v75
	v_sub_f16_e64 v97, v127, v131
	v_sub_f16_e64 v152, v127, v109
	v_add_f16_e32 v98, v127, v109
	v_sub_f16_e32 v121, v123, v99
	s_delay_alu instid0(VALU_DEP_4) | instskip(SKIP_4) | instid1(VALU_DEP_4)
	v_add_f16_e32 v120, v97, v120
	v_sub_f16_e64 v97, v101, v133
	v_sub_f16_e64 v128, v101, v123
	v_fma_f16 v153, 0xbb9c, v152, v150
	v_fmac_f16_e64 v150, 0x3b9c, v152
	v_add_f16_e32 v121, v97, v121
	v_add_f16_e64 v97, v131, v137
	s_delay_alu instid0(VALU_DEP_4) | instskip(NEXT) | instid1(VALU_DEP_4)
	v_fmac_f16_e64 v153, 0xb8b4, v154
	v_fmac_f16_e64 v150, 0x38b4, v154
	s_delay_alu instid0(VALU_DEP_3) | instskip(NEXT) | instid1(VALU_DEP_3)
	v_fma_f16 v124, -0.5, v97, v95
	v_fmac_f16_e64 v153, 0x34f2, v121
	v_fmac_f16_e32 v95, -0.5, v98
	v_sub_f16_e64 v98, v131, v127
	v_add_f16_e64 v127, v142, v101
	v_fma_f16 v97, 0x3b9c, v128, v124
	v_fmac_f16_e64 v124, 0xbb9c, v128
	v_fmac_f16_e64 v150, 0x34f2, v121
	s_delay_alu instid0(VALU_DEP_3) | instskip(NEXT) | instid1(VALU_DEP_3)
	v_fmac_f16_e64 v97, 0x38b4, v139
	v_fmac_f16_e64 v124, 0xb8b4, v139
	s_delay_alu instid0(VALU_DEP_2) | instskip(NEXT) | instid1(VALU_DEP_2)
	v_fmac_f16_e32 v97, 0x34f2, v120
	v_fmac_f16_e32 v124, 0x34f2, v120
	s_delay_alu instid0(VALU_DEP_2) | instskip(SKIP_3) | instid1(VALU_DEP_1)
	v_pack_b32_f16 v153, v97, v153
	v_add_nc_u32_e32 v97, 0x200, v130
	ds_store_2addr_b32 v97, v153, v122 offset0:93 offset1:144
	v_sub_f16_e64 v122, v137, v109
	v_add_f16_e32 v98, v98, v122
	v_add_f16_e32 v122, v101, v123
	v_sub_f16_e64 v101, v133, v101
	s_delay_alu instid0(VALU_DEP_2) | instskip(SKIP_1) | instid1(VALU_DEP_1)
	v_fmac_f16_e64 v142, -0.5, v122
	v_sub_f16_e32 v122, v99, v123
	v_add_f16_e32 v101, v101, v122
	v_pack_b32_f16 v122, v125, v126
	v_fma_f16 v125, 0xbb9c, v139, v95
	v_fma_f16 v126, 0x3b9c, v154, v142
	v_fmac_f16_e64 v95, 0x3b9c, v139
	v_fmac_f16_e64 v142, 0xbb9c, v154
	s_delay_alu instid0(VALU_DEP_4) | instskip(NEXT) | instid1(VALU_DEP_4)
	v_fmac_f16_e64 v125, 0x38b4, v128
	v_fmac_f16_e64 v126, 0xb8b4, v152
	s_delay_alu instid0(VALU_DEP_4) | instskip(NEXT) | instid1(VALU_DEP_4)
	;; [unrolled: 3-line block ×3, first 2 shown]
	v_fmac_f16_e32 v125, 0x34f2, v98
	v_fmac_f16_e32 v126, 0x34f2, v101
	s_delay_alu instid0(VALU_DEP_4) | instskip(NEXT) | instid1(VALU_DEP_4)
	v_fmac_f16_e32 v95, 0x34f2, v98
	v_fmac_f16_e64 v142, 0x34f2, v101
	v_pack_b32_f16 v98, v107, v114
	s_delay_alu instid0(VALU_DEP_4) | instskip(NEXT) | instid1(VALU_DEP_3)
	v_pack_b32_f16 v125, v125, v126
	v_pack_b32_f16 v95, v95, v142
	ds_store_2addr_b32 v115, v122, v125 offset0:67 offset1:84
	ds_store_2addr_b32 v115, v95, v98 offset0:203 offset1:254
	v_pack_b32_f16 v95, v135, v146
	v_pack_b32_f16 v98, v124, v150
	ds_store_2addr_b32 v96, v95, v98 offset0:49 offset1:66
	v_add_f16_e64 v95, v111, v131
	v_add_f16_e64 v98, v127, v133
	s_delay_alu instid0(VALU_DEP_2) | instskip(NEXT) | instid1(VALU_DEP_2)
	v_add_f16_e64 v95, v95, v137
	v_add_f16_e32 v98, v98, v99
	s_delay_alu instid0(VALU_DEP_2) | instskip(NEXT) | instid1(VALU_DEP_2)
	v_add_f16_e32 v95, v95, v109
	v_add_f16_e32 v98, v98, v123
	s_delay_alu instid0(VALU_DEP_1)
	v_pack_b32_f16 v95, v95, v98
	ds_store_b32 v130, v95 offset:408
	global_wb scope:SCOPE_SE
	s_wait_dscnt 0x0
	s_barrier_signal -1
	s_barrier_wait -1
	global_inv scope:SCOPE_SE
	global_load_b32 v98, v[93:94], off offset:2380
	ds_load_2addr_b32 v[93:94], v130 offset1:17
	s_wait_dscnt 0x0
	v_lshrrev_b32_e32 v100, 16, v93
	s_wait_loadcnt 0x0
	v_lshrrev_b32_e32 v99, 16, v98
	s_delay_alu instid0(VALU_DEP_1) | instskip(NEXT) | instid1(VALU_DEP_3)
	v_mul_f16_e32 v95, v93, v99
	v_mul_f16_e32 v99, v100, v99
	s_delay_alu instid0(VALU_DEP_2) | instskip(NEXT) | instid1(VALU_DEP_2)
	v_fmac_f16_e32 v95, v100, v98
	v_fma_f16 v98, v93, v98, -v99
	v_lshlrev_b32_e32 v93, 2, v186
	s_clause 0x3
	global_load_b32 v99, v93, s[0:1] offset:68
	global_load_b32 v101, v93, s[0:1] offset:136
	;; [unrolled: 1-line block ×4, first 2 shown]
	v_lshrrev_b32_e32 v100, 16, v94
	v_pack_b32_f16 v95, v98, v95
	s_wait_loadcnt 0x3
	v_lshrrev_b32_e32 v110, 16, v99
	s_delay_alu instid0(VALU_DEP_1) | instskip(SKIP_1) | instid1(VALU_DEP_2)
	v_mul_f16_e32 v111, v100, v110
	v_mul_f16_e32 v110, v94, v110
	v_fma_f16 v94, v94, v99, -v111
	s_clause 0x5
	global_load_b32 v111, v93, s[0:1] offset:680
	global_load_b32 v112, v93, s[0:1] offset:748
	;; [unrolled: 1-line block ×6, first 2 shown]
	v_fmac_f16_e32 v110, v100, v99
	ds_load_2addr_b32 v[99:100], v130 offset0:170 offset1:187
	v_pack_b32_f16 v94, v94, v110
	ds_store_2addr_b32 v130, v95, v94 offset1:17
	s_wait_dscnt 0x1
	v_lshrrev_b32_e32 v119, 16, v99
	s_wait_loadcnt 0x5
	v_lshrrev_b32_e32 v118, 16, v111
	s_delay_alu instid0(VALU_DEP_1) | instskip(NEXT) | instid1(VALU_DEP_3)
	v_mul_f16_e32 v120, v99, v118
	v_mul_f16_e32 v118, v119, v118
	s_delay_alu instid0(VALU_DEP_2) | instskip(NEXT) | instid1(VALU_DEP_2)
	v_fmac_f16_e32 v120, v119, v111
	v_fma_f16 v99, v99, v111, -v118
	v_lshrrev_b32_e32 v111, 16, v100
	s_wait_loadcnt 0x4
	v_lshrrev_b32_e32 v118, 16, v112
	s_delay_alu instid0(VALU_DEP_3) | instskip(NEXT) | instid1(VALU_DEP_2)
	v_pack_b32_f16 v94, v99, v120
	v_mul_f16_e32 v119, v111, v118
	v_mul_f16_e32 v118, v100, v118
	s_delay_alu instid0(VALU_DEP_2) | instskip(NEXT) | instid1(VALU_DEP_2)
	v_fma_f16 v100, v100, v112, -v119
	v_fmac_f16_e32 v118, v111, v112
	s_delay_alu instid0(VALU_DEP_1)
	v_pack_b32_f16 v95, v100, v118
	ds_store_2addr_b32 v130, v94, v95 offset0:170 offset1:187
	s_clause 0x5
	global_load_b32 v98, v93, s[0:1] offset:1360
	global_load_b32 v99, v93, s[0:1] offset:1428
	;; [unrolled: 1-line block ×6, first 2 shown]
	ds_load_2addr_b32 v[94:95], v115 offset0:84 offset1:101
	s_wait_dscnt 0x0
	v_lshrrev_b32_e32 v119, 16, v94
	s_wait_loadcnt 0x5
	v_lshrrev_b32_e32 v118, 16, v98
	s_delay_alu instid0(VALU_DEP_1) | instskip(NEXT) | instid1(VALU_DEP_3)
	v_mul_f16_e32 v120, v94, v118
	v_mul_f16_e32 v118, v119, v118
	s_delay_alu instid0(VALU_DEP_2) | instskip(NEXT) | instid1(VALU_DEP_2)
	v_fmac_f16_e32 v120, v119, v98
	v_fma_f16 v98, v94, v98, -v118
	v_lshrrev_b32_e32 v94, 16, v95
	s_wait_loadcnt 0x4
	v_lshrrev_b32_e32 v118, 16, v99
	s_delay_alu instid0(VALU_DEP_3) | instskip(NEXT) | instid1(VALU_DEP_2)
	v_pack_b32_f16 v98, v98, v120
	v_mul_f16_e32 v119, v94, v118
	v_mul_f16_e32 v118, v95, v118
	s_delay_alu instid0(VALU_DEP_2) | instskip(NEXT) | instid1(VALU_DEP_2)
	v_fma_f16 v119, v95, v99, -v119
	v_fmac_f16_e32 v118, v94, v99
	s_clause 0x3
	global_load_b32 v99, v93, s[0:1] offset:2040
	global_load_b32 v121, v93, s[0:1] offset:2108
	;; [unrolled: 1-line block ×4, first 2 shown]
	ds_load_2addr_b32 v[94:95], v108 offset0:126 offset1:143
	s_wait_dscnt 0x0
	v_lshrrev_b32_e32 v125, 16, v94
	s_wait_loadcnt 0x3
	v_lshrrev_b32_e32 v124, 16, v99
	s_delay_alu instid0(VALU_DEP_1) | instskip(NEXT) | instid1(VALU_DEP_3)
	v_mul_f16_e32 v126, v94, v124
	v_mul_f16_e32 v124, v125, v124
	s_delay_alu instid0(VALU_DEP_2) | instskip(NEXT) | instid1(VALU_DEP_2)
	v_fmac_f16_e32 v126, v125, v99
	v_fma_f16 v94, v94, v99, -v124
	v_lshrrev_b32_e32 v99, 16, v95
	s_wait_loadcnt 0x2
	v_lshrrev_b32_e32 v124, 16, v121
	s_delay_alu instid0(VALU_DEP_3) | instskip(NEXT) | instid1(VALU_DEP_2)
	v_pack_b32_f16 v94, v94, v126
	v_mul_f16_e32 v125, v99, v124
	v_mul_f16_e32 v124, v95, v124
	s_delay_alu instid0(VALU_DEP_2) | instskip(NEXT) | instid1(VALU_DEP_2)
	v_fma_f16 v95, v95, v121, -v125
	v_fmac_f16_e32 v124, v99, v121
	v_pack_b32_f16 v99, v119, v118
	s_delay_alu instid0(VALU_DEP_2)
	v_pack_b32_f16 v95, v95, v124
	ds_store_2addr_b32 v115, v98, v99 offset0:84 offset1:101
	ds_store_2addr_b32 v108, v94, v95 offset0:126 offset1:143
	s_clause 0x3
	global_load_b32 v98, v93, s[0:1] offset:408
	global_load_b32 v99, v93, s[0:1] offset:476
	global_load_b32 v118, v93, s[0:1] offset:544
	global_load_b32 v119, v93, s[0:1] offset:340
	ds_load_2addr_b32 v[94:95], v130 offset0:102 offset1:119
	s_wait_dscnt 0x0
	v_lshrrev_b32_e32 v121, 16, v94
	s_wait_loadcnt 0x3
	v_lshrrev_b32_e32 v120, 16, v98
	s_delay_alu instid0(VALU_DEP_1) | instskip(NEXT) | instid1(VALU_DEP_3)
	v_mul_f16_e32 v124, v94, v120
	v_mul_f16_e32 v120, v121, v120
	s_delay_alu instid0(VALU_DEP_2) | instskip(NEXT) | instid1(VALU_DEP_2)
	v_fmac_f16_e32 v124, v121, v98
	v_fma_f16 v98, v94, v98, -v120
	v_lshrrev_b32_e32 v94, 16, v95
	s_wait_loadcnt 0x2
	v_lshrrev_b32_e32 v120, 16, v99
	s_delay_alu instid0(VALU_DEP_3) | instskip(NEXT) | instid1(VALU_DEP_2)
	v_pack_b32_f16 v98, v98, v124
	v_mul_f16_e32 v121, v94, v120
	v_mul_f16_e32 v120, v95, v120
	s_delay_alu instid0(VALU_DEP_2) | instskip(NEXT) | instid1(VALU_DEP_2)
	v_fma_f16 v121, v95, v99, -v121
	v_fmac_f16_e32 v120, v94, v99
	s_clause 0x1
	global_load_b32 v99, v93, s[0:1] offset:1088
	global_load_b32 v125, v93, s[0:1] offset:1020
	ds_load_2addr_b32 v[94:95], v115 offset0:16 offset1:33
	s_wait_dscnt 0x0
	v_lshrrev_b32_e32 v127, 16, v94
	s_wait_loadcnt 0x1
	v_lshrrev_b32_e32 v126, 16, v99
	s_delay_alu instid0(VALU_DEP_1) | instskip(NEXT) | instid1(VALU_DEP_3)
	v_mul_f16_e64 v128, v94, v126
	v_mul_f16_e32 v126, v127, v126
	s_delay_alu instid0(VALU_DEP_2) | instskip(NEXT) | instid1(VALU_DEP_2)
	v_fmac_f16_e64 v128, v127, v99
	v_fma_f16 v94, v94, v99, -v126
	s_clause 0x1
	global_load_b32 v99, v93, s[0:1] offset:1156
	global_load_b32 v126, v93, s[0:1] offset:1224
	v_lshrrev_b32_e32 v127, 16, v95
	v_pack_b32_f16 v94, v94, v128
	s_wait_loadcnt 0x1
	v_lshrrev_b32_e32 v131, 16, v99
	s_delay_alu instid0(VALU_DEP_1) | instskip(SKIP_1) | instid1(VALU_DEP_2)
	v_mul_f16_e64 v133, v127, v131
	v_mul_f16_e64 v131, v95, v131
	v_fma_f16 v95, v95, v99, -v133
	s_delay_alu instid0(VALU_DEP_2) | instskip(SKIP_1) | instid1(VALU_DEP_2)
	v_fmac_f16_e64 v131, v127, v99
	v_pack_b32_f16 v99, v121, v120
	v_pack_b32_f16 v95, v95, v131
	ds_store_2addr_b32 v130, v98, v99 offset0:102 offset1:119
	ds_store_2addr_b32 v115, v94, v95 offset0:16 offset1:33
	s_clause 0x3
	global_load_b32 v98, v93, s[0:1] offset:1768
	global_load_b32 v99, v93, s[0:1] offset:1836
	;; [unrolled: 1-line block ×4, first 2 shown]
	ds_load_2addr_b32 v[94:95], v115 offset0:186 offset1:203
	s_wait_dscnt 0x0
	v_lshrrev_b32_e32 v127, 16, v94
	s_wait_loadcnt 0x3
	v_lshrrev_b32_e32 v124, 16, v98
	s_delay_alu instid0(VALU_DEP_1) | instskip(NEXT) | instid1(VALU_DEP_3)
	v_mul_f16_e64 v128, v94, v124
	v_mul_f16_e32 v124, v127, v124
	s_delay_alu instid0(VALU_DEP_2) | instskip(NEXT) | instid1(VALU_DEP_2)
	v_fmac_f16_e64 v128, v127, v98
	v_fma_f16 v98, v94, v98, -v124
	v_lshrrev_b32_e32 v94, 16, v95
	s_wait_loadcnt 0x2
	v_lshrrev_b32_e32 v124, 16, v99
	s_delay_alu instid0(VALU_DEP_3) | instskip(NEXT) | instid1(VALU_DEP_2)
	v_pack_b32_f16 v98, v98, v128
	v_mul_f16_e32 v127, v94, v124
	v_mul_f16_e32 v124, v95, v124
	s_delay_alu instid0(VALU_DEP_2) | instskip(NEXT) | instid1(VALU_DEP_2)
	v_fma_f16 v127, v95, v99, -v127
	v_fmac_f16_e32 v124, v94, v99
	ds_load_2addr_b32 v[94:95], v130 offset0:34 offset1:51
	v_lshrrev_b32_e32 v99, 16, v101
	s_wait_dscnt 0x0
	v_lshrrev_b32_e32 v131, 16, v94
	s_delay_alu instid0(VALU_DEP_2) | instskip(NEXT) | instid1(VALU_DEP_2)
	v_mul_f16_e64 v133, v94, v99
	v_mul_f16_e64 v99, v131, v99
	s_delay_alu instid0(VALU_DEP_2) | instskip(NEXT) | instid1(VALU_DEP_2)
	v_fmac_f16_e64 v133, v131, v101
	v_fma_f16 v94, v94, v101, -v99
	v_lshrrev_b32_e32 v99, 16, v95
	v_lshrrev_b32_e32 v101, 16, v107
	s_delay_alu instid0(VALU_DEP_3) | instskip(NEXT) | instid1(VALU_DEP_2)
	v_pack_b32_f16 v94, v94, v133
	v_mul_f16_e64 v131, v99, v101
	v_mul_f16_e32 v101, v95, v101
	s_delay_alu instid0(VALU_DEP_2) | instskip(NEXT) | instid1(VALU_DEP_2)
	v_fma_f16 v95, v95, v107, -v131
	v_fmac_f16_e32 v101, v99, v107
	v_pack_b32_f16 v99, v127, v124
	s_delay_alu instid0(VALU_DEP_2)
	v_pack_b32_f16 v95, v95, v101
	ds_store_2addr_b32 v115, v98, v99 offset0:186 offset1:203
	v_lshrrev_b32_e32 v98, 16, v113
	ds_store_2addr_b32 v130, v94, v95 offset0:34 offset1:51
	ds_load_2addr_b32 v[94:95], v130 offset0:204 offset1:221
	s_wait_dscnt 0x0
	v_lshrrev_b32_e32 v99, 16, v94
	v_mul_f16_e32 v101, v94, v98
	s_delay_alu instid0(VALU_DEP_2) | instskip(NEXT) | instid1(VALU_DEP_2)
	v_mul_f16_e32 v98, v99, v98
	v_fmac_f16_e32 v101, v99, v113
	v_lshrrev_b32_e32 v99, 16, v114
	s_delay_alu instid0(VALU_DEP_3) | instskip(SKIP_2) | instid1(VALU_DEP_3)
	v_fma_f16 v98, v94, v113, -v98
	v_lshrrev_b32_e32 v94, 16, v95
	v_lshrrev_b32_e32 v113, 16, v100
	v_pack_b32_f16 v98, v98, v101
	s_delay_alu instid0(VALU_DEP_3) | instskip(SKIP_1) | instid1(VALU_DEP_2)
	v_mul_f16_e32 v107, v94, v99
	v_mul_f16_e32 v99, v95, v99
	v_fma_f16 v107, v95, v114, -v107
	s_delay_alu instid0(VALU_DEP_2)
	v_fmac_f16_e32 v99, v94, v114
	ds_load_2addr_b32 v[94:95], v115 offset0:118 offset1:135
	v_pack_b32_f16 v99, v107, v99
	ds_store_2addr_b32 v130, v98, v99 offset0:204 offset1:221
	v_lshrrev_b32_e32 v98, 16, v122
	s_wait_dscnt 0x1
	v_lshrrev_b32_e32 v114, 16, v94
	v_mul_f16_e32 v124, v94, v113
	s_delay_alu instid0(VALU_DEP_2) | instskip(NEXT) | instid1(VALU_DEP_2)
	v_mul_f16_e32 v113, v114, v113
	v_fmac_f16_e32 v124, v114, v100
	s_delay_alu instid0(VALU_DEP_2) | instskip(SKIP_2) | instid1(VALU_DEP_3)
	v_fma_f16 v94, v94, v100, -v113
	v_lshrrev_b32_e32 v100, 16, v95
	v_lshrrev_b32_e32 v113, 16, v110
	v_pack_b32_f16 v94, v94, v124
	s_delay_alu instid0(VALU_DEP_2) | instskip(SKIP_1) | instid1(VALU_DEP_2)
	v_mul_f16_e32 v114, v100, v113
	v_mul_f16_e32 v113, v95, v113
	v_fma_f16 v95, v95, v110, -v114
	s_delay_alu instid0(VALU_DEP_2) | instskip(NEXT) | instid1(VALU_DEP_1)
	v_fmac_f16_e32 v113, v100, v110
	v_pack_b32_f16 v95, v95, v113
	ds_store_2addr_b32 v115, v94, v95 offset0:118 offset1:135
	ds_load_2addr_b32 v[94:95], v96 offset0:32 offset1:49
	s_wait_dscnt 0x0
	v_lshrrev_b32_e32 v99, 16, v94
	v_mul_f16_e32 v100, v94, v98
	s_delay_alu instid0(VALU_DEP_2) | instskip(NEXT) | instid1(VALU_DEP_2)
	v_mul_f16_e32 v98, v99, v98
	v_fmac_f16_e32 v100, v99, v122
	s_delay_alu instid0(VALU_DEP_2)
	v_fma_f16 v98, v94, v122, -v98
	s_clause 0x1
	global_load_b32 v94, v93, s[0:1] offset:2244
	global_load_b32 v99, v93, s[0:1] offset:2312
	v_lshrrev_b32_e32 v93, 16, v95
	v_pack_b32_f16 v98, v98, v100
	s_wait_loadcnt 0x1
	v_lshrrev_b32_e32 v101, 16, v94
	s_delay_alu instid0(VALU_DEP_1) | instskip(SKIP_1) | instid1(VALU_DEP_2)
	v_mul_f16_e32 v107, v93, v101
	v_mul_f16_e32 v101, v95, v101
	v_fma_f16 v95, v95, v94, -v107
	s_delay_alu instid0(VALU_DEP_2)
	v_fmac_f16_e32 v101, v93, v94
	ds_load_2addr_b32 v[93:94], v130 offset0:68 offset1:85
	v_lshrrev_b32_e32 v107, 16, v119
	v_pack_b32_f16 v95, v95, v101
	ds_store_2addr_b32 v96, v98, v95 offset0:32 offset1:49
	v_lshrrev_b32_e32 v95, 16, v118
	s_wait_dscnt 0x1
	v_lshrrev_b32_e32 v110, 16, v94
	v_mul_f16_e32 v113, v94, v107
	s_delay_alu instid0(VALU_DEP_2) | instskip(NEXT) | instid1(VALU_DEP_2)
	v_mul_f16_e32 v107, v110, v107
	v_fmac_f16_e32 v113, v110, v119
	v_lshrrev_b32_e32 v110, 16, v109
	s_delay_alu instid0(VALU_DEP_3) | instskip(SKIP_1) | instid1(VALU_DEP_2)
	v_fma_f16 v94, v94, v119, -v107
	v_lshrrev_b32_e32 v107, 16, v93
	v_pack_b32_f16 v94, v94, v113
	s_delay_alu instid0(VALU_DEP_2) | instskip(SKIP_1) | instid1(VALU_DEP_2)
	v_mul_f16_e32 v114, v107, v110
	v_mul_f16_e32 v110, v93, v110
	v_fma_f16 v93, v93, v109, -v114
	s_delay_alu instid0(VALU_DEP_2) | instskip(SKIP_1) | instid1(VALU_DEP_2)
	v_fmac_f16_e32 v110, v107, v109
	v_lshrrev_b32_e32 v107, 16, v125
	v_pack_b32_f16 v93, v93, v110
	ds_store_2addr_b32 v130, v93, v94 offset0:68 offset1:85
	ds_load_2addr_b32 v[93:94], v130 offset0:136 offset1:153
	s_wait_dscnt 0x0
	v_lshrrev_b32_e32 v98, 16, v93
	v_mul_f16_e32 v100, v93, v95
	s_delay_alu instid0(VALU_DEP_2) | instskip(NEXT) | instid1(VALU_DEP_2)
	v_mul_f16_e32 v95, v98, v95
	v_fmac_f16_e32 v100, v98, v118
	v_lshrrev_b32_e32 v98, 16, v117
	s_delay_alu instid0(VALU_DEP_3) | instskip(SKIP_1) | instid1(VALU_DEP_2)
	v_fma_f16 v95, v93, v118, -v95
	v_lshrrev_b32_e32 v93, 16, v94
	v_pack_b32_f16 v95, v95, v100
	s_delay_alu instid0(VALU_DEP_2) | instskip(SKIP_1) | instid1(VALU_DEP_2)
	v_mul_f16_e32 v101, v93, v98
	v_mul_f16_e32 v98, v94, v98
	v_fma_f16 v101, v94, v117, -v101
	s_delay_alu instid0(VALU_DEP_2)
	v_fmac_f16_e32 v98, v93, v117
	ds_load_2addr_b32 v[93:94], v130 offset0:238 offset1:255
	v_pack_b32_f16 v98, v101, v98
	ds_store_2addr_b32 v130, v95, v98 offset0:136 offset1:153
	v_lshrrev_b32_e32 v95, 16, v126
	s_wait_dscnt 0x1
	v_lshrrev_b32_e32 v109, 16, v94
	v_mul_f16_e32 v110, v94, v107
	s_delay_alu instid0(VALU_DEP_2) | instskip(NEXT) | instid1(VALU_DEP_2)
	v_mul_f16_e32 v107, v109, v107
	v_fmac_f16_e32 v110, v109, v125
	v_lshrrev_b32_e32 v109, 16, v116
	s_delay_alu instid0(VALU_DEP_3) | instskip(SKIP_1) | instid1(VALU_DEP_2)
	v_fma_f16 v94, v94, v125, -v107
	v_lshrrev_b32_e32 v107, 16, v93
	v_pack_b32_f16 v94, v94, v110
	s_delay_alu instid0(VALU_DEP_2) | instskip(SKIP_1) | instid1(VALU_DEP_2)
	v_mul_f16_e32 v113, v107, v109
	v_mul_f16_e32 v109, v93, v109
	v_fma_f16 v93, v93, v116, -v113
	s_delay_alu instid0(VALU_DEP_2) | instskip(SKIP_1) | instid1(VALU_DEP_2)
	v_fmac_f16_e32 v109, v107, v116
	v_lshrrev_b32_e32 v107, 16, v121
	v_pack_b32_f16 v93, v93, v109
	ds_store_2addr_b32 v130, v93, v94 offset0:238 offset1:255
	ds_load_2addr_b32 v[93:94], v115 offset0:50 offset1:67
	s_wait_dscnt 0x0
	v_lshrrev_b32_e32 v98, 16, v93
	v_mul_f16_e32 v100, v93, v95
	s_delay_alu instid0(VALU_DEP_2) | instskip(NEXT) | instid1(VALU_DEP_2)
	v_mul_f16_e32 v95, v98, v95
	v_fmac_f16_e32 v100, v98, v126
	v_lshrrev_b32_e32 v98, 16, v112
	s_delay_alu instid0(VALU_DEP_3) | instskip(SKIP_1) | instid1(VALU_DEP_2)
	v_fma_f16 v95, v93, v126, -v95
	v_lshrrev_b32_e32 v93, 16, v94
	v_pack_b32_f16 v95, v95, v100
	s_delay_alu instid0(VALU_DEP_2) | instskip(SKIP_1) | instid1(VALU_DEP_2)
	v_mul_f16_e32 v101, v93, v98
	v_mul_f16_e32 v98, v94, v98
	v_fma_f16 v101, v94, v112, -v101
	s_delay_alu instid0(VALU_DEP_2)
	v_fmac_f16_e32 v98, v93, v112
	ds_load_2addr_b32 v[93:94], v115 offset0:152 offset1:169
	v_pack_b32_f16 v98, v101, v98
	ds_store_2addr_b32 v115, v95, v98 offset0:50 offset1:67
	v_lshrrev_b32_e32 v95, 16, v120
	s_wait_dscnt 0x1
	v_lshrrev_b32_e32 v109, 16, v94
	v_mul_f16_e32 v110, v94, v107
	s_delay_alu instid0(VALU_DEP_2) | instskip(NEXT) | instid1(VALU_DEP_2)
	v_mul_f16_e32 v107, v109, v107
	v_fmac_f16_e32 v110, v109, v121
	v_lshrrev_b32_e32 v109, 16, v111
	s_delay_alu instid0(VALU_DEP_3) | instskip(SKIP_1) | instid1(VALU_DEP_2)
	v_fma_f16 v94, v94, v121, -v107
	v_lshrrev_b32_e32 v107, 16, v93
	v_pack_b32_f16 v94, v94, v110
	s_delay_alu instid0(VALU_DEP_2) | instskip(SKIP_1) | instid1(VALU_DEP_2)
	v_mul_f16_e32 v112, v107, v109
	v_mul_f16_e32 v109, v93, v109
	v_fma_f16 v93, v93, v111, -v112
	s_delay_alu instid0(VALU_DEP_2) | instskip(SKIP_2) | instid1(VALU_DEP_2)
	v_fmac_f16_e32 v109, v107, v111
	s_wait_loadcnt 0x0
	v_lshrrev_b32_e32 v107, 16, v99
	v_pack_b32_f16 v93, v93, v109
	ds_store_2addr_b32 v115, v93, v94 offset0:152 offset1:169
	ds_load_2addr_b32 v[93:94], v115 offset0:220 offset1:237
	s_wait_dscnt 0x0
	v_lshrrev_b32_e32 v98, 16, v93
	v_mul_f16_e32 v100, v93, v95
	s_delay_alu instid0(VALU_DEP_2) | instskip(NEXT) | instid1(VALU_DEP_2)
	v_mul_f16_e32 v95, v98, v95
	v_fmac_f16_e32 v100, v98, v120
	v_lshrrev_b32_e32 v98, 16, v123
	s_delay_alu instid0(VALU_DEP_3) | instskip(SKIP_1) | instid1(VALU_DEP_2)
	v_fma_f16 v93, v93, v120, -v95
	v_lshrrev_b32_e32 v95, 16, v94
	v_pack_b32_f16 v93, v93, v100
	s_delay_alu instid0(VALU_DEP_2) | instskip(SKIP_1) | instid1(VALU_DEP_2)
	v_mul_f16_e32 v101, v95, v98
	v_mul_f16_e32 v98, v94, v98
	v_fma_f16 v94, v94, v123, -v101
	s_delay_alu instid0(VALU_DEP_2)
	v_fmac_f16_e32 v98, v95, v123
	ds_load_b32 v95, v130 offset:2312
	v_pack_b32_f16 v94, v94, v98
	ds_store_2addr_b32 v115, v93, v94 offset0:220 offset1:237
	s_wait_dscnt 0x1
	v_lshrrev_b32_e32 v101, 16, v95
	s_delay_alu instid0(VALU_DEP_1) | instskip(SKIP_1) | instid1(VALU_DEP_2)
	v_mul_f16_e32 v109, v101, v107
	v_mul_f16_e32 v107, v95, v107
	v_fma_f16 v95, v95, v99, -v109
	s_delay_alu instid0(VALU_DEP_2) | instskip(NEXT) | instid1(VALU_DEP_1)
	v_fmac_f16_e32 v107, v101, v99
	v_pack_b32_f16 v93, v95, v107
	ds_store_b32 v130, v93 offset:2312
	global_wb scope:SCOPE_SE
	s_wait_dscnt 0x0
	s_barrier_signal -1
	s_barrier_wait -1
	global_inv scope:SCOPE_SE
	ds_load_2addr_b32 v[93:94], v130 offset0:170 offset1:187
	ds_load_2addr_b32 v[98:99], v115 offset0:186 offset1:203
	;; [unrolled: 1-line block ×4, first 2 shown]
	s_wait_dscnt 0x2
	v_pk_add_f16 v95, v94, v98
	v_pk_add_f16 v94, v94, v98 neg_lo:[0,1] neg_hi:[0,1]
	s_wait_dscnt 0x1
	v_pk_add_f16 v98, v109, v99
	v_pk_add_f16 v99, v109, v99 neg_lo:[0,1] neg_hi:[0,1]
	;; [unrolled: 3-line block ×3, first 2 shown]
	ds_load_2addr_b32 v[109:110], v130 offset0:238 offset1:255
	s_wait_dscnt 0x0
	v_pk_add_f16 v100, v109, v112
	v_pk_add_f16 v122, v109, v112 neg_lo:[0,1] neg_hi:[0,1]
	ds_load_2addr_b32 v[111:112], v115 offset0:84 offset1:101
	s_wait_dscnt 0x0
	v_pk_add_f16 v113, v110, v111
	v_pk_add_f16 v114, v111, v110 neg_lo:[0,1] neg_hi:[0,1]
	;; [unrolled: 4-line block ×6, first 2 shown]
	ds_load_2addr_b32 v[108:109], v108 offset0:126 offset1:143
	ds_load_2addr_b32 v[110:111], v130 offset0:68 offset1:85
	v_pk_add_f16 v131, v93, v112
	v_pk_add_f16 v93, v93, v112 neg_lo:[0,1] neg_hi:[0,1]
	s_delay_alu instid0(VALU_DEP_2) | instskip(NEXT) | instid1(VALU_DEP_2)
	v_pk_add_f16 v139, v113, v131 neg_lo:[0,1] neg_hi:[0,1]
	v_pk_add_f16 v144, v114, v93 neg_lo:[0,1] neg_hi:[0,1]
	s_wait_dscnt 0x0
	v_pk_add_f16 v137, v111, v108
	v_pk_add_f16 v108, v111, v108 neg_lo:[0,1] neg_hi:[0,1]
	v_pk_add_f16 v111, v114, v93
	s_delay_alu instid0(VALU_DEP_3) | instskip(NEXT) | instid1(VALU_DEP_3)
	v_pk_add_f16 v112, v131, v137
	v_pk_add_f16 v142, v108, v114 neg_lo:[0,1] neg_hi:[0,1]
	s_delay_alu instid0(VALU_DEP_3) | instskip(SKIP_1) | instid1(VALU_DEP_4)
	v_pk_add_f16 v141, v111, v108
	v_pk_add_f16 v93, v93, v108 neg_lo:[0,1] neg_hi:[0,1]
	v_pk_add_f16 v116, v113, v112
	v_pk_add_f16 v112, v137, v113 neg_lo:[0,1] neg_hi:[0,1]
	v_pk_mul_f16 v113, 0xb574, v142 op_sel_hi:[0,1]
	s_delay_alu instid0(VALU_DEP_4) | instskip(NEXT) | instid1(VALU_DEP_3)
	v_pk_mul_f16 v93, 0xbb00, v93 op_sel_hi:[0,1]
	v_pk_mul_f16 v146, 0x3a52, v112 op_sel_hi:[0,1]
	ds_load_2addr_b32 v[111:112], v130 offset1:17
	v_pk_fma_f16 v113, 0x3846, v144, v113 op_sel_hi:[0,1,1]
	v_pk_fma_f16 v114, 0x2b26, v139, v146 op_sel_hi:[0,1,1]
	s_delay_alu instid0(VALU_DEP_2) | instskip(SKIP_2) | instid1(VALU_DEP_1)
	v_pk_fma_f16 v113, 0xb70e, v141, v113 op_sel_hi:[0,1,1]
	s_wait_dscnt 0x0
	v_pk_add_f16 v111, v111, v116
	v_pk_fma_f16 v148, 0x3cab, v116, v111 op_sel_hi:[0,1,1] neg_lo:[0,1,0] neg_hi:[0,1,0]
	s_delay_alu instid0(VALU_DEP_1) | instskip(NEXT) | instid1(VALU_DEP_1)
	v_pk_add_f16 v114, v114, v148
	v_pk_add_f16 v150, v114, v113 op_sel:[0,1] op_sel_hi:[1,0]
	v_pk_add_f16 v152, v114, v113 op_sel:[0,1] op_sel_hi:[1,0] neg_lo:[0,1] neg_hi:[0,1]
	ds_load_b32 v153, v130 offset:2312
	ds_load_2addr_b32 v[113:114], v130 offset0:102 offset1:119
	ds_load_2addr_b32 v[116:117], v130 offset0:34 offset1:51
	;; [unrolled: 1-line block ×4, first 2 shown]
	global_wb scope:SCOPE_SE
	s_wait_dscnt 0x0
	s_barrier_signal -1
	s_barrier_wait -1
	v_bfi_b32 v154, 0xffff, v150, v152
	global_inv scope:SCOPE_SE
	ds_store_2addr_b32 v106, v111, v154 offset1:1
	v_pk_add_f16 v111, v131, v137 neg_lo:[0,1] neg_hi:[0,1]
	v_pk_fma_f16 v131, 0x3846, v144, v93 op_sel_hi:[0,1,1] neg_lo:[0,1,0] neg_hi:[0,1,0]
	v_pk_fma_f16 v93, 0xb574, v142, v93 op_sel_hi:[0,1,1] neg_lo:[0,1,1] neg_hi:[0,1,1]
	s_delay_alu instid0(VALU_DEP_3) | instskip(NEXT) | instid1(VALU_DEP_3)
	v_pk_mul_f16 v108, 0x39e0, v111 op_sel_hi:[0,1]
	v_pk_fma_f16 v131, 0xb70e, v141, v131 op_sel_hi:[0,1,1]
	s_delay_alu instid0(VALU_DEP_3) | instskip(NEXT) | instid1(VALU_DEP_3)
	v_pk_fma_f16 v93, 0xb70e, v141, v93 op_sel_hi:[0,1,1]
	v_pk_add_f16 v111, v146, v108 op_sel:[1,1] op_sel_hi:[0,0] neg_lo:[1,1] neg_hi:[1,1]
	v_pk_fma_f16 v108, 0x2b26, v139, v108 op_sel_hi:[0,1,1] neg_lo:[0,1,0] neg_hi:[0,1,0]
	s_delay_alu instid0(VALU_DEP_2) | instskip(NEXT) | instid1(VALU_DEP_2)
	v_pk_add_f16 v111, v111, v148 op_sel:[0,1] op_sel_hi:[1,0]
	v_pk_add_f16 v108, v108, v148
	s_delay_alu instid0(VALU_DEP_1) | instskip(SKIP_1) | instid1(VALU_DEP_4)
	v_pk_add_f16 v137, v108, v131 op_sel:[0,1] op_sel_hi:[1,0] neg_lo:[0,1] neg_hi:[0,1]
	v_pk_add_f16 v108, v108, v131 op_sel:[0,1] op_sel_hi:[1,0]
	v_pk_add_f16 v131, v111, v93
	v_pk_add_f16 v93, v111, v93 neg_lo:[0,1] neg_hi:[0,1]
	s_delay_alu instid0(VALU_DEP_3) | instskip(SKIP_1) | instid1(VALU_DEP_3)
	v_bfi_b32 v111, 0xffff, v137, v108
	v_bfi_b32 v108, 0xffff, v108, v137
	v_alignbit_b32 v137, v93, v131, 16
	v_alignbit_b32 v93, v131, v93, 16
	ds_store_2addr_b32 v106, v137, v111 offset0:2 offset1:3
	v_bfi_b32 v111, 0xffff, v152, v150
	ds_store_2addr_b32 v106, v108, v93 offset0:4 offset1:5
	ds_store_b32 v106, v111 offset:24
	v_pk_add_f16 v93, v113, v109
	v_pk_add_f16 v109, v113, v109 neg_lo:[0,1] neg_hi:[0,1]
	v_pk_add_f16 v113, v124, v94
	s_delay_alu instid0(VALU_DEP_3) | instskip(SKIP_1) | instid1(VALU_DEP_3)
	v_pk_add_f16 v106, v95, v93
	v_pk_add_f16 v111, v93, v123 neg_lo:[0,1] neg_hi:[0,1]
	v_pk_add_f16 v113, v113, v109
	v_pk_add_f16 v93, v95, v93 neg_lo:[0,1] neg_hi:[0,1]
	s_delay_alu instid0(VALU_DEP_4) | instskip(NEXT) | instid1(VALU_DEP_4)
	v_pk_add_f16 v106, v123, v106
	v_pk_mul_f16 v111, 0x3a52, v111 op_sel_hi:[0,1]
	s_delay_alu instid0(VALU_DEP_3) | instskip(NEXT) | instid1(VALU_DEP_3)
	v_pk_mul_f16 v93, 0x39e0, v93 op_sel_hi:[0,1]
	v_pk_add_f16 v108, v112, v106
	v_pk_add_f16 v112, v123, v95 neg_lo:[0,1] neg_hi:[0,1]
	v_pk_add_f16 v123, v109, v124 neg_lo:[0,1] neg_hi:[0,1]
	;; [unrolled: 1-line block ×4, first 2 shown]
	v_pk_fma_f16 v106, 0x3cab, v106, v108 op_sel_hi:[0,1,1] neg_lo:[0,1,0] neg_hi:[0,1,0]
	v_pk_fma_f16 v137, 0x2b26, v112, v111 op_sel_hi:[0,1,1]
	v_pk_mul_f16 v131, 0xb574, v123 op_sel_hi:[0,1]
	v_pk_add_f16 v95, v111, v93 op_sel:[1,1] op_sel_hi:[0,0] neg_lo:[1,1] neg_hi:[1,1]
	v_pk_mul_f16 v94, 0xbb00, v94 op_sel_hi:[0,1]
	v_pk_fma_f16 v93, 0x2b26, v112, v93 op_sel_hi:[0,1,1] neg_lo:[0,1,0] neg_hi:[0,1,0]
	v_pk_add_f16 v137, v137, v106
	v_pk_fma_f16 v131, 0x3846, v124, v131 op_sel_hi:[0,1,1]
	v_pk_add_f16 v95, v95, v106 op_sel:[0,1] op_sel_hi:[1,0]
	v_pk_add_f16 v111, v126, v99 neg_lo:[0,1] neg_hi:[0,1]
	v_pk_add_f16 v93, v93, v106
	s_delay_alu instid0(VALU_DEP_4) | instskip(NEXT) | instid1(VALU_DEP_1)
	v_pk_fma_f16 v131, 0xb70e, v113, v131 op_sel_hi:[0,1,1]
	v_pk_add_f16 v139, v137, v131 op_sel:[0,1] op_sel_hi:[1,0]
	v_pk_add_f16 v131, v137, v131 op_sel:[0,1] op_sel_hi:[1,0] neg_lo:[0,1] neg_hi:[0,1]
	s_delay_alu instid0(VALU_DEP_1) | instskip(SKIP_3) | instid1(VALU_DEP_2)
	v_bfi_b32 v137, 0xffff, v139, v131
	ds_store_2addr_b32 v104, v108, v137 offset1:1
	v_pk_fma_f16 v108, 0x3846, v124, v94 op_sel_hi:[0,1,1] neg_lo:[0,1,0] neg_hi:[0,1,0]
	v_pk_fma_f16 v94, 0xb574, v123, v94 op_sel_hi:[0,1,1] neg_lo:[0,1,1] neg_hi:[0,1,1]
	v_pk_fma_f16 v106, 0xb70e, v113, v108 op_sel_hi:[0,1,1]
	s_delay_alu instid0(VALU_DEP_2) | instskip(NEXT) | instid1(VALU_DEP_2)
	v_pk_fma_f16 v94, 0xb70e, v113, v94 op_sel_hi:[0,1,1]
	v_pk_add_f16 v108, v93, v106 op_sel:[0,1] op_sel_hi:[1,0] neg_lo:[0,1] neg_hi:[0,1]
	v_pk_add_f16 v93, v93, v106 op_sel:[0,1] op_sel_hi:[1,0]
	s_delay_alu instid0(VALU_DEP_3) | instskip(SKIP_1) | instid1(VALU_DEP_3)
	v_pk_add_f16 v106, v95, v94
	v_pk_add_f16 v94, v95, v94 neg_lo:[0,1] neg_hi:[0,1]
	v_bfi_b32 v95, 0xffff, v108, v93
	v_bfi_b32 v93, 0xffff, v93, v108
	s_delay_alu instid0(VALU_DEP_3)
	v_alignbit_b32 v108, v94, v106, 16
	v_alignbit_b32 v94, v106, v94, 16
	v_pk_add_f16 v106, v125, v98 neg_lo:[0,1] neg_hi:[0,1]
	ds_store_2addr_b32 v104, v108, v95 offset0:2 offset1:3
	v_bfi_b32 v95, 0xffff, v131, v139
	ds_store_2addr_b32 v104, v93, v94 offset0:4 offset1:5
	ds_store_b32 v104, v95 offset:24
	v_pk_add_f16 v93, v114, v118
	v_pk_add_f16 v94, v114, v118 neg_lo:[0,1] neg_hi:[0,1]
	v_pk_add_f16 v108, v126, v99
	s_delay_alu instid0(VALU_DEP_3) | instskip(SKIP_1) | instid1(VALU_DEP_3)
	v_pk_add_f16 v95, v98, v93
	v_pk_add_f16 v104, v93, v125 neg_lo:[0,1] neg_hi:[0,1]
	v_pk_add_f16 v108, v108, v94
	v_pk_add_f16 v109, v94, v126 neg_lo:[0,1] neg_hi:[0,1]
	v_pk_add_f16 v93, v98, v93 neg_lo:[0,1] neg_hi:[0,1]
	v_pk_add_f16 v95, v125, v95
	v_pk_add_f16 v94, v99, v94 neg_lo:[0,1] neg_hi:[0,1]
	v_pk_mul_f16 v104, 0x3a52, v104 op_sel_hi:[0,1]
	v_pk_mul_f16 v113, 0xb574, v109 op_sel_hi:[0,1]
	;; [unrolled: 1-line block ×3, first 2 shown]
	v_pk_add_f16 v112, v116, v95
	v_pk_mul_f16 v94, 0xbb00, v94 op_sel_hi:[0,1]
	v_pk_fma_f16 v114, 0x2b26, v106, v104 op_sel_hi:[0,1,1]
	v_pk_fma_f16 v113, 0x3846, v111, v113 op_sel_hi:[0,1,1]
	v_pk_add_f16 v98, v104, v93 op_sel:[1,1] op_sel_hi:[0,0] neg_lo:[1,1] neg_hi:[1,1]
	v_pk_fma_f16 v95, 0x3cab, v95, v112 op_sel_hi:[0,1,1] neg_lo:[0,1,0] neg_hi:[0,1,0]
	v_pk_fma_f16 v93, 0x2b26, v106, v93 op_sel_hi:[0,1,1] neg_lo:[0,1,0] neg_hi:[0,1,0]
	;; [unrolled: 1-line block ×4, first 2 shown]
	v_pk_fma_f16 v113, 0xb70e, v108, v113 op_sel_hi:[0,1,1]
	v_pk_add_f16 v114, v114, v95
	v_pk_add_f16 v98, v98, v95 op_sel:[0,1] op_sel_hi:[1,0]
	v_pk_add_f16 v93, v93, v95
	v_pk_fma_f16 v95, 0xb70e, v108, v99 op_sel_hi:[0,1,1]
	v_pk_fma_f16 v94, 0xb70e, v108, v94 op_sel_hi:[0,1,1]
	v_pk_add_f16 v116, v114, v113 op_sel:[0,1] op_sel_hi:[1,0]
	v_pk_add_f16 v113, v114, v113 op_sel:[0,1] op_sel_hi:[1,0] neg_lo:[0,1] neg_hi:[0,1]
	v_pk_add_f16 v104, v128, v107
	v_pk_add_f16 v99, v93, v95 op_sel:[0,1] op_sel_hi:[1,0] neg_lo:[0,1] neg_hi:[0,1]
	v_pk_add_f16 v93, v93, v95 op_sel:[0,1] op_sel_hi:[1,0]
	v_pk_add_f16 v95, v98, v94
	v_pk_add_f16 v94, v98, v94 neg_lo:[0,1] neg_hi:[0,1]
	v_bfi_b32 v114, 0xffff, v116, v113
	v_pk_add_f16 v108, v128, v107 neg_lo:[0,1] neg_hi:[0,1]
	v_bfi_b32 v98, 0xffff, v99, v93
	v_bfi_b32 v93, 0xffff, v93, v99
	v_alignbit_b32 v99, v94, v95, 16
	v_alignbit_b32 v94, v95, v94, 16
	v_bfi_b32 v95, 0xffff, v113, v116
	ds_store_2addr_b32 v103, v112, v114 offset1:1
	ds_store_2addr_b32 v103, v99, v98 offset0:2 offset1:3
	ds_store_2addr_b32 v103, v93, v94 offset0:4 offset1:5
	ds_store_b32 v103, v95 offset:24
	v_pk_add_f16 v93, v120, v119
	v_pk_add_f16 v98, v120, v119 neg_lo:[0,1] neg_hi:[0,1]
	v_pk_add_f16 v103, v127, v101 neg_lo:[0,1] neg_hi:[0,1]
	s_delay_alu instid0(VALU_DEP_3) | instskip(SKIP_1) | instid1(VALU_DEP_4)
	v_pk_add_f16 v94, v101, v93
	v_pk_add_f16 v99, v93, v127 neg_lo:[0,1] neg_hi:[0,1]
	v_pk_add_f16 v106, v98, v128 neg_lo:[0,1] neg_hi:[0,1]
	v_pk_add_f16 v104, v104, v98
	v_pk_add_f16 v93, v101, v93 neg_lo:[0,1] neg_hi:[0,1]
	v_pk_add_f16 v94, v127, v94
	v_pk_mul_f16 v99, 0x3a52, v99 op_sel_hi:[0,1]
	v_pk_mul_f16 v109, 0xb574, v106 op_sel_hi:[0,1]
	v_pk_add_f16 v101, v133, v100 neg_lo:[0,1] neg_hi:[0,1]
	v_pk_mul_f16 v93, 0x39e0, v93 op_sel_hi:[0,1]
	v_pk_add_f16 v95, v117, v94
	v_pk_fma_f16 v111, 0x2b26, v103, v99 op_sel_hi:[0,1,1]
	v_pk_fma_f16 v109, 0x3846, v108, v109 op_sel_hi:[0,1,1]
	s_delay_alu instid0(VALU_DEP_3) | instskip(NEXT) | instid1(VALU_DEP_2)
	v_pk_fma_f16 v94, 0x3cab, v94, v95 op_sel_hi:[0,1,1] neg_lo:[0,1,0] neg_hi:[0,1,0]
	v_pk_fma_f16 v109, 0xb70e, v104, v109 op_sel_hi:[0,1,1]
	s_delay_alu instid0(VALU_DEP_2) | instskip(NEXT) | instid1(VALU_DEP_1)
	v_pk_add_f16 v111, v111, v94
	v_pk_add_f16 v112, v111, v109 op_sel:[0,1] op_sel_hi:[1,0]
	v_pk_add_f16 v109, v111, v109 op_sel:[0,1] op_sel_hi:[1,0] neg_lo:[0,1] neg_hi:[0,1]
	s_delay_alu instid0(VALU_DEP_1)
	v_bfi_b32 v111, 0xffff, v112, v109
	ds_store_2addr_b32 v105, v95, v111 offset1:1
	v_pk_add_f16 v95, v107, v98 neg_lo:[0,1] neg_hi:[0,1]
	v_pk_add_f16 v98, v99, v93 op_sel:[1,1] op_sel_hi:[0,0] neg_lo:[1,1] neg_hi:[1,1]
	v_pk_fma_f16 v93, 0x2b26, v103, v93 op_sel_hi:[0,1,1] neg_lo:[0,1,0] neg_hi:[0,1,0]
	v_pk_add_f16 v103, v135, v122
	s_delay_alu instid0(VALU_DEP_4) | instskip(NEXT) | instid1(VALU_DEP_4)
	v_pk_mul_f16 v95, 0xbb00, v95 op_sel_hi:[0,1]
	v_pk_add_f16 v98, v98, v94 op_sel:[0,1] op_sel_hi:[1,0]
	s_delay_alu instid0(VALU_DEP_4) | instskip(NEXT) | instid1(VALU_DEP_3)
	v_pk_add_f16 v93, v93, v94
	v_pk_fma_f16 v99, 0x3846, v108, v95 op_sel_hi:[0,1,1] neg_lo:[0,1,0] neg_hi:[0,1,0]
	v_pk_fma_f16 v95, 0xb574, v106, v95 op_sel_hi:[0,1,1] neg_lo:[0,1,1] neg_hi:[0,1,1]
	s_delay_alu instid0(VALU_DEP_2) | instskip(NEXT) | instid1(VALU_DEP_2)
	v_pk_fma_f16 v94, 0xb70e, v104, v99 op_sel_hi:[0,1,1]
	v_pk_fma_f16 v95, 0xb70e, v104, v95 op_sel_hi:[0,1,1]
	s_delay_alu instid0(VALU_DEP_2) | instskip(SKIP_1) | instid1(VALU_DEP_3)
	v_pk_add_f16 v99, v93, v94 op_sel:[0,1] op_sel_hi:[1,0] neg_lo:[0,1] neg_hi:[0,1]
	v_pk_add_f16 v93, v93, v94 op_sel:[0,1] op_sel_hi:[1,0]
	v_pk_add_f16 v94, v98, v95
	v_pk_add_f16 v95, v98, v95 neg_lo:[0,1] neg_hi:[0,1]
	s_delay_alu instid0(VALU_DEP_3) | instskip(SKIP_1) | instid1(VALU_DEP_3)
	v_bfi_b32 v98, 0xffff, v99, v93
	v_bfi_b32 v93, 0xffff, v93, v99
	v_alignbit_b32 v99, v95, v94, 16
	v_alignbit_b32 v94, v94, v95, 16
	v_bfi_b32 v95, 0xffff, v109, v112
	ds_store_2addr_b32 v105, v99, v98 offset0:2 offset1:3
	ds_store_2addr_b32 v105, v93, v94 offset0:4 offset1:5
	ds_store_b32 v105, v95 offset:24
	v_pk_add_f16 v93, v121, v153
	v_pk_add_f16 v94, v121, v153 neg_lo:[0,1] neg_hi:[0,1]
	v_pk_add_f16 v105, v135, v122 neg_lo:[0,1] neg_hi:[0,1]
	s_delay_alu instid0(VALU_DEP_3) | instskip(SKIP_1) | instid1(VALU_DEP_4)
	v_pk_add_f16 v95, v100, v93
	v_pk_add_f16 v99, v93, v133 neg_lo:[0,1] neg_hi:[0,1]
	v_pk_add_f16 v104, v94, v135 neg_lo:[0,1] neg_hi:[0,1]
	v_pk_add_f16 v103, v103, v94
	v_pk_add_f16 v93, v100, v93 neg_lo:[0,1] neg_hi:[0,1]
	v_pk_add_f16 v95, v133, v95
	v_pk_mul_f16 v99, 0x3a52, v99 op_sel_hi:[0,1]
	v_pk_mul_f16 v106, 0xb574, v104 op_sel_hi:[0,1]
	v_pk_add_f16 v94, v122, v94 neg_lo:[0,1] neg_hi:[0,1]
	v_pk_mul_f16 v93, 0x39e0, v93 op_sel_hi:[0,1]
	v_pk_add_f16 v98, v110, v95
	v_pk_fma_f16 v107, 0x2b26, v101, v99 op_sel_hi:[0,1,1]
	v_pk_fma_f16 v106, 0x3846, v105, v106 op_sel_hi:[0,1,1]
	v_pk_mul_f16 v94, 0xbb00, v94 op_sel_hi:[0,1]
	s_delay_alu instid0(VALU_DEP_4) | instskip(NEXT) | instid1(VALU_DEP_3)
	v_pk_fma_f16 v95, 0x3cab, v95, v98 op_sel_hi:[0,1,1] neg_lo:[0,1,0] neg_hi:[0,1,0]
	v_pk_fma_f16 v106, 0xb70e, v103, v106 op_sel_hi:[0,1,1]
	s_delay_alu instid0(VALU_DEP_2) | instskip(NEXT) | instid1(VALU_DEP_1)
	v_pk_add_f16 v107, v107, v95
	v_pk_add_f16 v108, v107, v106 op_sel:[0,1] op_sel_hi:[1,0]
	v_pk_add_f16 v188, v107, v106 op_sel:[0,1] op_sel_hi:[1,0] neg_lo:[0,1] neg_hi:[0,1]
	s_delay_alu instid0(VALU_DEP_2) | instskip(NEXT) | instid1(VALU_DEP_2)
	v_lshrrev_b32_e32 v216, 16, v108
	v_bfi_b32 v106, 0xffff, v108, v188
	ds_store_2addr_b32 v102, v98, v106 offset1:1
	v_pk_add_f16 v98, v99, v93 op_sel:[1,1] op_sel_hi:[0,0] neg_lo:[1,1] neg_hi:[1,1]
	v_pk_fma_f16 v93, 0x2b26, v101, v93 op_sel_hi:[0,1,1] neg_lo:[0,1,0] neg_hi:[0,1,0]
	v_pk_fma_f16 v99, 0x3846, v105, v94 op_sel_hi:[0,1,1] neg_lo:[0,1,0] neg_hi:[0,1,0]
	;; [unrolled: 1-line block ×3, first 2 shown]
	s_delay_alu instid0(VALU_DEP_4) | instskip(NEXT) | instid1(VALU_DEP_4)
	v_pk_add_f16 v98, v98, v95 op_sel:[0,1] op_sel_hi:[1,0]
	v_pk_add_f16 v93, v93, v95
	s_delay_alu instid0(VALU_DEP_4) | instskip(NEXT) | instid1(VALU_DEP_4)
	v_pk_fma_f16 v95, 0xb70e, v103, v99 op_sel_hi:[0,1,1]
	v_pk_fma_f16 v94, 0xb70e, v103, v94 op_sel_hi:[0,1,1]
	s_delay_alu instid0(VALU_DEP_2) | instskip(SKIP_1) | instid1(VALU_DEP_3)
	v_pk_add_f16 v99, v93, v95 op_sel:[0,1] op_sel_hi:[1,0] neg_lo:[0,1] neg_hi:[0,1]
	v_pk_add_f16 v93, v93, v95 op_sel:[0,1] op_sel_hi:[1,0]
	v_pk_add_f16 v95, v98, v94
	v_pk_add_f16 v94, v98, v94 neg_lo:[0,1] neg_hi:[0,1]
	s_delay_alu instid0(VALU_DEP_3) | instskip(SKIP_1) | instid1(VALU_DEP_3)
	v_bfi_b32 v98, 0xffff, v99, v93
	v_bfi_b32 v93, 0xffff, v93, v99
	v_alignbit_b32 v99, v94, v95, 16
	v_alignbit_b32 v94, v95, v94, 16
	v_bfi_b32 v95, 0xffff, v188, v108
	ds_store_2addr_b32 v102, v99, v98 offset0:2 offset1:3
	ds_store_2addr_b32 v102, v93, v94 offset0:4 offset1:5
	ds_store_b32 v102, v95 offset:24
	global_wb scope:SCOPE_SE
	s_wait_dscnt 0x0
	s_barrier_signal -1
	s_barrier_wait -1
	global_inv scope:SCOPE_SE
	ds_load_2addr_b32 v[113:114], v97 offset0:117 offset1:134
	ds_load_2addr_b32 v[111:112], v115 offset0:24 offset1:41
	;; [unrolled: 1-line block ×10, first 2 shown]
	ds_load_2addr_b32 v[93:94], v130 offset1:17
	ds_load_2addr_b32 v[125:126], v130 offset0:35 offset1:52
	ds_load_2addr_b32 v[123:124], v130 offset0:70 offset1:87
	;; [unrolled: 1-line block ×6, first 2 shown]
	s_and_saveexec_b32 s0, vcc_lo
	s_cbranch_execz .LBB0_7
; %bb.6:
	v_add_nc_u32_e32 v79, 0x400, v200
	v_add_nc_u32_e32 v80, 0x600, v200
	;; [unrolled: 1-line block ×3, first 2 shown]
	ds_load_b32 v188, v130 offset:136
	ds_load_2addr_b32 v[77:78], v200 offset0:69 offset1:104
	ds_load_2addr_b32 v[81:82], v200 offset0:139 offset1:174
	;; [unrolled: 1-line block ×8, first 2 shown]
	s_wait_dscnt 0x8
	v_lshrrev_b32_e32 v216, 16, v188
	s_wait_dscnt 0x7
	v_lshrrev_b32_e32 v249, 16, v77
	v_lshrrev_b32_e32 v251, 16, v78
	s_wait_dscnt 0x6
	v_lshrrev_b32_e32 v253, 16, v81
	v_lshrrev_b32_e32 v255, 16, v82
	s_wait_dscnt 0x5
	v_lshrrev_b32_e32 v129, 16, v85
	v_lshrrev_b32_e32 v134, 16, v86
	s_wait_dscnt 0x4
	v_lshrrev_b32_e32 v140, 16, v89
	v_lshrrev_b32_e32 v145, 16, v90
	s_wait_dscnt 0x3
	v_lshrrev_b32_e32 v147, 16, v91
	v_lshrrev_b32_e32 v143, 16, v92
	s_wait_dscnt 0x2
	v_lshrrev_b32_e32 v138, 16, v87
	v_lshrrev_b32_e32 v132, 16, v88
	s_wait_dscnt 0x1
	v_lshrrev_b32_e32 v136, 16, v83
	v_lshrrev_b32_e32 v254, 16, v84
	s_wait_dscnt 0x0
	v_lshrrev_b32_e32 v252, 16, v79
	v_lshrrev_b32_e32 v250, 16, v80
.LBB0_7:
	s_wait_alu 0xfffe
	s_or_b32 exec_lo, exec_lo, s0
	s_wait_dscnt 0x5
	v_lshrrev_b32_e32 v135, 16, v125
	s_wait_dscnt 0x4
	v_lshrrev_b32_e32 v137, 16, v123
	v_mul_f16_e64 v182, v248, v125
	s_wait_dscnt 0x3
	v_lshrrev_b32_e32 v146, 16, v121
	v_mul_f16_e64 v183, v247, v123
	v_mul_f16_e64 v221, v248, v135
	;; [unrolled: 1-line block ×3, first 2 shown]
	v_fma_f16 v135, v36, v135, -v182
	s_wait_dscnt 0x2
	v_lshrrev_b32_e32 v152, 16, v119
	s_wait_dscnt 0x1
	v_lshrrev_b32_e32 v153, 16, v117
	v_fmac_f16_e64 v221, v36, v125
	v_mul_f16_e64 v36, v246, v121
	s_wait_dscnt 0x0
	v_lshrrev_b32_e32 v154, 16, v115
	v_fmac_f16_e64 v218, v37, v123
	v_fma_f16 v219, v37, v137, -v183
	v_mul_f16_e64 v37, v244, v119
	v_fma_f16 v248, v38, v146, -v36
	v_mul_f16_e64 v36, v245, v117
	v_lshrrev_b32_e32 v155, 16, v113
	v_lshrrev_b32_e32 v156, 16, v111
	v_mul_f16_e64 v247, v246, v146
	v_mul_f16_e64 v246, v244, v152
	v_fma_f16 v244, v39, v152, -v37
	v_mul_f16_e64 v123, v235, v154
	v_mul_f16_e64 v37, v235, v115
	v_fma_f16 v235, v40, v153, -v36
	v_mul_f16_e64 v36, v234, v113
	v_lshrrev_b32_e32 v158, 16, v107
	v_fmac_f16_e64 v247, v38, v121
	v_fmac_f16_e32 v123, v41, v115
	v_mul_f16_e64 v115, v233, v156
	v_fma_f16 v121, v42, v155, -v36
	v_mul_f16_e64 v36, v233, v111
	v_lshrrev_b32_e32 v160, 16, v103
	v_fmac_f16_e64 v246, v39, v119
	v_fmac_f16_e32 v115, v43, v111
	v_mul_f16_e64 v119, v239, v158
	v_fma_f16 v111, v43, v156, -v36
	v_mul_f16_e64 v36, v239, v107
	v_lshrrev_b32_e32 v161, 16, v101
	v_mul_f16_e64 v197, v245, v153
	v_fmac_f16_e32 v119, v45, v107
	v_mul_f16_e64 v233, v236, v160
	v_fma_f16 v107, v45, v158, -v36
	v_mul_f16_e64 v36, v236, v103
	v_lshrrev_b32_e32 v157, 16, v109
	v_fmac_f16_e64 v197, v40, v117
	v_mul_f16_e64 v117, v234, v155
	v_mul_f16_e64 v234, v243, v161
	v_fmac_f16_e64 v233, v47, v103
	v_fma_f16 v103, v47, v160, -v36
	v_mul_f16_e64 v36, v243, v101
	v_lshrrev_b32_e32 v163, 16, v97
	v_lshrrev_b32_e32 v167, 16, v126
	v_fma_f16 v125, v41, v154, -v37
	v_fmac_f16_e32 v117, v42, v113
	v_mul_f16_e64 v113, v241, v157
	v_mul_f16_e64 v37, v241, v109
	v_fmac_f16_e64 v234, v32, v101
	v_fma_f16 v101, v32, v161, -v36
	v_mul_f16_e64 v32, v240, v97
	v_lshrrev_b32_e32 v159, 16, v105
	v_fmac_f16_e32 v113, v44, v109
	v_fma_f16 v109, v44, v157, -v37
	v_mul_f16_e64 v44, v232, v167
	v_fma_f16 v220, v34, v163, -v32
	v_mul_f16_e64 v32, v232, v126
	v_lshrrev_b32_e32 v162, 16, v99
	v_lshrrev_b32_e32 v169, 16, v124
	;; [unrolled: 1-line block ×3, first 2 shown]
	v_mul_f16_e64 v195, v237, v159
	v_mul_f16_e64 v37, v237, v105
	;; [unrolled: 1-line block ×3, first 2 shown]
	v_fmac_f16_e32 v44, v28, v126
	v_fma_f16 v45, v28, v167, -v32
	v_mul_f16_e64 v28, v231, v124
	v_lshrrev_b32_e32 v171, 16, v122
	v_lshrrev_b32_e32 v180, 16, v116
	v_fmac_f16_e64 v195, v46, v105
	v_fma_f16 v105, v46, v159, -v37
	v_mul_f16_e64 v236, v242, v162
	v_mul_f16_e64 v37, v242, v99
	v_fmac_f16_e64 v237, v34, v97
	v_mul_f16_e64 v41, v231, v169
	v_mul_f16_e64 v34, v228, v173
	v_fma_f16 v42, v29, v169, -v28
	v_mul_f16_e64 v28, v228, v120
	v_lshrrev_b32_e32 v165, 16, v95
	v_fmac_f16_e64 v236, v33, v99
	v_fma_f16 v99, v33, v162, -v37
	v_mul_f16_e64 v38, v230, v171
	v_fmac_f16_e32 v41, v29, v124
	v_mul_f16_e64 v32, v230, v122
	v_fmac_f16_e32 v34, v31, v120
	v_fma_f16 v37, v31, v173, -v28
	v_mul_f16_e64 v29, v227, v180
	v_mul_f16_e64 v31, v227, v116
	v_lshrrev_b32_e32 v217, 16, v93
	v_lshrrev_b32_e32 v178, 16, v118
	v_mul_f16_e64 v137, v238, v165
	v_mul_f16_e64 v33, v238, v95
	v_fmac_f16_e32 v38, v30, v122
	v_fma_f16 v40, v30, v171, -v32
	v_mul_f16_e64 v30, v229, v118
	v_fmac_f16_e32 v29, v25, v116
	v_fma_f16 v31, v25, v180, -v31
	v_add_f16_e64 v25, v93, v221
	v_lshrrev_b32_e32 v150, 16, v114
	v_lshrrev_b32_e32 v148, 16, v112
	v_fmac_f16_e64 v137, v35, v95
	v_fma_f16 v146, v35, v165, -v33
	v_mul_f16_e64 v32, v229, v178
	v_fma_f16 v35, v24, v178, -v30
	v_add_f16_e64 v30, v217, v135
	v_mul_f16_e64 v33, v226, v114
	v_add_f16_e64 v25, v25, v218
	v_lshrrev_b32_e32 v144, 16, v110
	v_fmac_f16_e32 v32, v24, v118
	v_mul_f16_e64 v28, v226, v150
	v_mul_f16_e64 v24, v225, v148
	v_add_f16_e64 v36, v30, v219
	v_mul_f16_e64 v39, v225, v112
	v_fma_f16 v30, v26, v150, -v33
	v_add_f16_e64 v33, v25, v247
	v_fmac_f16_e32 v28, v26, v114
	v_fmac_f16_e32 v24, v27, v112
	v_add_f16_e64 v36, v36, v248
	v_fma_f16 v25, v27, v148, -v39
	v_mul_f16_e64 v26, v224, v144
	v_mul_f16_e64 v27, v224, v110
	v_add_f16_e64 v39, v33, v246
	v_add_f16_e64 v36, v36, v244
	v_lshrrev_b32_e32 v142, 16, v108
	v_fmac_f16_e32 v26, v20, v110
	v_fma_f16 v27, v20, v144, -v27
	v_add_f16_e64 v20, v39, v197
	v_add_f16_e64 v36, v36, v235
	v_lshrrev_b32_e32 v141, 16, v106
	v_mul_f16_e64 v33, v223, v142
	v_mul_f16_e64 v43, v223, v108
	v_add_f16_e32 v20, v20, v123
	v_add_f16_e32 v46, v36, v125
	v_lshrrev_b32_e32 v139, 16, v104
	v_fmac_f16_e32 v33, v21, v108
	v_mul_f16_e64 v39, v222, v141
	v_add_f16_e32 v20, v20, v117
	v_mul_f16_e64 v47, v222, v106
	v_fma_f16 v36, v21, v142, -v43
	v_add_f16_e32 v21, v46, v121
	v_lshrrev_b32_e32 v46, 16, v23
	v_add_f16_e32 v20, v20, v115
	v_lshrrev_b32_e32 v133, 16, v102
	v_lshrrev_b32_e32 v131, 16, v100
	v_fmac_f16_e32 v39, v22, v106
	v_fma_f16 v22, v22, v141, -v47
	v_mul_f16_e64 v43, v46, v139
	v_mul_f16_e32 v47, v46, v104
	v_add_f16_e32 v21, v21, v111
	v_lshrrev_b32_e32 v95, 16, v16
	v_add_f16_e32 v20, v20, v113
	v_lshrrev_b32_e32 v97, 16, v17
	v_fmac_f16_e32 v43, v23, v104
	v_fma_f16 v23, v23, v139, -v47
	v_mul_f16_e64 v46, v95, v133
	v_add_f16_e32 v21, v21, v109
	v_mul_f16_e32 v47, v95, v102
	v_mul_f16_e64 v95, v97, v131
	v_add_f16_e32 v20, v20, v119
	v_mul_f16_e32 v97, v97, v100
	v_lshrrev_b32_e32 v127, 16, v98
	v_fmac_f16_e32 v46, v16, v102
	v_add_f16_e32 v21, v21, v107
	v_fma_f16 v47, v16, v133, -v47
	v_fmac_f16_e32 v95, v17, v100
	v_add_f16_e64 v16, v20, v195
	v_fma_f16 v97, v17, v131, -v97
	v_lshrrev_b32_e32 v17, 16, v18
	v_lshrrev_b32_e32 v128, 16, v96
	v_add_f16_e32 v20, v21, v105
	v_add_f16_e64 v16, v16, v233
	v_lshrrev_b32_e32 v21, 16, v19
	v_mul_f16_e64 v198, v17, v127
	v_mul_f16_e32 v17, v17, v98
	v_add_f16_e32 v20, v20, v103
	v_add_f16_e64 v16, v16, v234
	v_mul_f16_e64 v199, v21, v128
	v_fmac_f16_e64 v198, v18, v98
	v_fma_f16 v98, v18, v127, -v17
	v_sub_f16_e64 v18, v135, v146
	v_add_f16_e32 v17, v20, v101
	v_fmac_f16_e64 v199, v19, v96
	v_mul_f16_e32 v20, v21, v96
	v_add_f16_e64 v16, v16, v236
	v_add_f16_e64 v96, v221, v137
	v_mul_f16_e32 v100, 0xb5c8, v18
	v_add_f16_e32 v17, v17, v99
	v_add_f16_e64 v102, v135, v146
	v_add_f16_e64 v16, v16, v237
	v_sub_f16_e64 v104, v221, v137
	v_fmamk_f16 v106, v96, 0x3b76, v100
	v_add_f16_e64 v17, v17, v220
	v_mul_f16_e32 v108, 0x3b76, v102
	v_fma_f16 v19, v19, v128, -v20
	v_add_f16_e64 v20, v16, v137
	v_add_f16_e32 v16, v93, v106
	v_mul_f16_e32 v106, 0xb964, v18
	v_mul_f16_e32 v110, 0x39e9, v102
	;; [unrolled: 1-line block ×6, first 2 shown]
	v_mul_f16_e64 v131, 0xbbb2, v18
	v_mul_f16_e64 v133, 0xb461, v102
	;; [unrolled: 1-line block ×6, first 2 shown]
	v_mul_f16_e32 v18, 0xb1e1, v18
	v_mul_f16_e32 v102, 0xbbdd, v102
	v_sub_f16_e64 v155, v219, v220
	v_add_f16_e64 v157, v219, v220
	v_add_f16_e64 v21, v17, v146
	v_fmamk_f16 v17, v104, 0x35c8, v108
	v_fma_f16 v100, v96, 0x3b76, -v100
	v_fmac_f16_e32 v108, 0xb5c8, v104
	v_fmamk_f16 v112, v96, 0x39e9, v106
	v_fmamk_f16 v114, v104, 0x3964, v110
	v_fma_f16 v106, v96, 0x39e9, -v106
	v_fmac_f16_e32 v110, 0xb964, v104
	v_fmamk_f16 v118, v96, 0x3722, v116
	;; [unrolled: 4-line block ×3, first 2 shown]
	v_fma_f16 v128, 0x3bf7, v104, v127
	v_fma_f16 v122, v96, 0x2de8, -v122
	v_fmac_f16_e32 v127, 0xbbf7, v104
	v_fma_f16 v135, 0xb461, v96, v131
	v_fma_f16 v137, 0x3bb2, v104, v133
	v_fma_f16 v131, v96, 0xb461, -v131
	v_fmac_f16_e64 v133, 0xbbb2, v104
	v_fma_f16 v141, 0xb8d2, v96, v139
	v_fma_f16 v146, 0x3a62, v104, v142
	v_fma_f16 v139, v96, 0xb8d2, -v139
	v_fmac_f16_e64 v142, 0xba62, v104
	;; [unrolled: 4-line block ×3, first 2 shown]
	v_fma_f16 v153, 0xbbdd, v96, v18
	v_fma_f16 v154, 0x31e1, v104, v102
	v_add_f16_e64 v156, v218, v237
	v_mul_f16_e64 v158, 0xb964, v155
	v_fma_f16 v18, v96, 0xbbdd, -v18
	v_fmac_f16_e32 v102, 0xb1e1, v104
	v_sub_f16_e64 v96, v218, v237
	v_mul_f16_e64 v104, 0x39e9, v157
	v_add_f16_e64 v17, v217, v17
	v_add_f16_e32 v100, v93, v100
	v_add_f16_e32 v112, v93, v112
	;; [unrolled: 1-line block ×7, first 2 shown]
	v_add_f16_e64 v135, v93, v135
	v_add_f16_e64 v131, v93, v131
	;; [unrolled: 1-line block ×7, first 2 shown]
	v_fma_f16 v159, 0x39e9, v156, v158
	v_add_f16_e32 v18, v93, v18
	v_add_f16_e64 v93, v217, v102
	v_mul_f16_e64 v102, 0xbbf7, v155
	v_fma_f16 v160, 0x3964, v96, v104
	v_add_f16_e64 v108, v217, v108
	v_add_f16_e64 v16, v159, v16
	v_fma_f16 v158, v156, 0x39e9, -v158
	v_fmac_f16_e32 v104, 0xb964, v96
	v_fma_f16 v159, 0x2de8, v156, v102
	v_add_f16_e64 v17, v160, v17
	v_mul_f16_e64 v160, 0x2de8, v157
	v_add_f16_e64 v110, v217, v110
	v_add_f16_e64 v100, v158, v100
	v_add_f16_e32 v104, v104, v108
	v_add_f16_e64 v108, v159, v112
	v_fma_f16 v158, 0x3bf7, v96, v160
	v_fma_f16 v102, v156, 0x2de8, -v102
	v_fmac_f16_e64 v160, 0xbbf7, v96
	v_mul_f16_e64 v159, 0xb8d2, v157
	v_add_f16_e64 v114, v217, v114
	v_add_f16_e64 v124, v217, v124
	v_mul_f16_e64 v112, 0xba62, v155
	v_add_f16_e32 v102, v102, v106
	v_add_f16_e64 v106, v160, v110
	v_fma_f16 v110, 0x3a62, v96, v159
	v_add_f16_e64 v120, v217, v120
	v_fma_f16 v161, 0xb8d2, v156, v112
	v_add_f16_e64 v114, v158, v114
	v_mul_f16_e64 v158, 0xb1e1, v155
	v_fma_f16 v112, v156, 0xb8d2, -v112
	v_fmac_f16_e64 v159, 0xba62, v96
	v_add_f16_e32 v110, v110, v124
	v_mul_f16_e64 v124, 0xbbdd, v157
	v_add_f16_e64 v128, v217, v128
	v_fma_f16 v160, 0xbbdd, v156, v158
	v_add_f16_e32 v112, v112, v116
	v_add_f16_e64 v116, v159, v120
	v_mul_f16_e64 v120, 0x3836, v155
	v_fma_f16 v159, 0x31e1, v96, v124
	v_add_f16_e64 v127, v217, v127
	v_add_f16_e64 v126, v160, v126
	v_fma_f16 v158, v156, 0xbbdd, -v158
	v_fmac_f16_e32 v124, 0xb1e1, v96
	v_fma_f16 v160, 0xbacd, v156, v120
	v_add_f16_e64 v128, v159, v128
	v_mul_f16_e64 v159, 0xbacd, v157
	v_add_f16_e64 v137, v217, v137
	v_add_f16_e64 v133, v217, v133
	;; [unrolled: 1-line block ×3, first 2 shown]
	v_add_f16_e32 v124, v124, v127
	v_add_f16_e64 v127, v160, v135
	v_mul_f16_e64 v135, 0x3bb2, v155
	v_fma_f16 v158, 0xb836, v96, v159
	v_fma_f16 v120, v156, 0xbacd, -v120
	v_fmac_f16_e64 v159, 0x3836, v96
	v_mul_f16_e64 v160, 0xb461, v157
	v_add_f16_e64 v146, v217, v146
	v_add_f16_e64 v142, v217, v142
	;; [unrolled: 1-line block ×3, first 2 shown]
	v_fma_f16 v161, 0xb461, v156, v135
	v_add_f16_e64 v137, v158, v137
	v_add_f16_e64 v120, v120, v131
	;; [unrolled: 1-line block ×3, first 2 shown]
	v_fma_f16 v133, 0xbbb2, v96, v160
	v_mul_f16_e64 v158, 0x3b29, v155
	v_fma_f16 v135, v156, 0xb461, -v135
	v_fmac_f16_e64 v160, 0x3bb2, v96
	v_add_f16_e64 v152, v217, v152
	v_add_f16_e64 v133, v133, v146
	v_mul_f16_e64 v146, 0x3722, v157
	v_fma_f16 v159, 0x3722, v156, v158
	v_add_f16_e64 v135, v135, v139
	v_add_f16_e64 v139, v160, v142
	v_mul_f16_e64 v142, 0x35c8, v155
	v_add_f16_e64 v150, v217, v150
	v_fma_f16 v155, 0xbb29, v96, v146
	v_add_f16_e64 v148, v159, v148
	v_fmac_f16_e64 v146, 0x3b29, v96
	v_fma_f16 v159, 0x3b76, v156, v142
	v_fma_f16 v158, v156, 0x3722, -v158
	v_add_f16_e64 v152, v155, v152
	v_mul_f16_e64 v155, 0x3b76, v157
	v_add_f16_e64 v146, v146, v150
	v_add_f16_e64 v150, v159, v153
	v_sub_f16_e64 v153, v248, v99
	v_add_f16_e64 v99, v248, v99
	v_add_f16_e64 v154, v217, v154
	;; [unrolled: 1-line block ×3, first 2 shown]
	v_fma_f16 v157, 0xb5c8, v96, v155
	v_fma_f16 v142, v156, 0x3b76, -v142
	v_add_f16_e64 v156, v247, v236
	v_mul_f16_e64 v158, 0xbb29, v153
	v_fmac_f16_e64 v155, 0x35c8, v96
	v_sub_f16_e64 v96, v247, v236
	v_mul_f16_e64 v159, 0x3722, v99
	v_add_f16_e64 v154, v157, v154
	v_fma_f16 v157, 0x3722, v156, v158
	v_add_f16_e64 v18, v142, v18
	v_add_f16_e64 v93, v155, v93
	v_fma_f16 v142, 0x3b29, v96, v159
	v_mul_f16_e64 v155, 0xba62, v153
	v_add_f16_e64 v16, v157, v16
	v_fma_f16 v157, v156, 0x3722, -v158
	v_mul_f16_e64 v158, 0xb8d2, v99
	v_add_f16_e64 v17, v142, v17
	v_fma_f16 v142, 0xb8d2, v156, v155
	v_fmac_f16_e64 v159, 0xbb29, v96
	v_add_f16_e64 v100, v157, v100
	v_mul_f16_e64 v157, 0x31e1, v153
	v_fma_f16 v155, v156, 0xb8d2, -v155
	v_add_f16_e64 v108, v142, v108
	v_fma_f16 v142, 0x3a62, v96, v158
	v_fmac_f16_e64 v158, 0xba62, v96
	v_mul_f16_e64 v160, 0xbbdd, v99
	v_add_f16_e64 v104, v159, v104
	v_fma_f16 v159, 0xbbdd, v156, v157
	v_add_f16_e64 v114, v142, v114
	v_add_f16_e64 v102, v155, v102
	;; [unrolled: 1-line block ×3, first 2 shown]
	v_fma_f16 v142, 0xb1e1, v96, v160
	v_mul_f16_e64 v155, 0x3bb2, v153
	v_fma_f16 v157, v156, 0xbbdd, -v157
	v_mul_f16_e64 v158, 0xb461, v99
	v_add_f16_e64 v118, v159, v118
	v_add_f16_e64 v110, v142, v110
	v_fma_f16 v142, 0xb461, v156, v155
	v_add_f16_e64 v112, v157, v112
	v_fma_f16 v157, 0xbbb2, v96, v158
	v_mul_f16_e64 v159, 0x3964, v153
	v_fmac_f16_e64 v160, 0x31e1, v96
	v_add_f16_e64 v126, v142, v126
	v_fma_f16 v142, v156, 0xb461, -v155
	v_add_f16_e64 v128, v157, v128
	v_fma_f16 v155, 0x39e9, v156, v159
	v_mul_f16_e64 v157, 0x39e9, v99
	v_add_f16_e64 v116, v160, v116
	v_mul_f16_e64 v160, 0x3b76, v99
	v_fmac_f16_e64 v158, 0x3bb2, v96
	v_add_f16_e64 v127, v155, v127
	v_fma_f16 v155, 0xb964, v96, v157
	v_fmac_f16_e64 v157, 0x3964, v96
	v_add_f16_e64 v122, v142, v122
	v_add_f16_e64 v124, v158, v124
	v_mul_f16_e64 v142, 0xb5c8, v153
	v_add_f16_e64 v137, v155, v137
	v_add_f16_e64 v131, v157, v131
	v_fma_f16 v155, 0x35c8, v96, v160
	v_mul_f16_e64 v157, 0xbbf7, v153
	v_fma_f16 v158, v156, 0x39e9, -v159
	v_fma_f16 v159, 0x3b76, v156, v142
	v_fma_f16 v142, v156, 0x3b76, -v142
	v_add_f16_e64 v133, v155, v133
	v_fma_f16 v155, 0x2de8, v156, v157
	v_add_f16_e64 v120, v158, v120
	v_mul_f16_e64 v158, 0x2de8, v99
	v_add_f16_e64 v135, v142, v135
	v_mul_f16_e64 v153, 0xb836, v153
	v_add_f16_e64 v148, v155, v148
	v_fma_f16 v155, v156, 0x2de8, -v157
	v_fma_f16 v142, 0x3bf7, v96, v158
	v_fmac_f16_e64 v158, 0xbbf7, v96
	v_add_f16_e64 v141, v161, v141
	v_mul_f16_e32 v99, 0xbacd, v99
	v_add_f16_e64 v144, v155, v144
	v_sub_f16_e64 v155, v244, v101
	v_add_f16_e64 v142, v142, v152
	v_fma_f16 v152, 0xbacd, v156, v153
	v_add_f16_e64 v146, v158, v146
	v_add_f16_e64 v157, v246, v234
	v_mul_f16_e64 v158, 0xbbf7, v155
	v_add_f16_e64 v101, v244, v101
	v_add_f16_e64 v141, v159, v141
	v_fmac_f16_e64 v160, 0xb5c8, v96
	v_add_f16_e64 v150, v152, v150
	v_fma_f16 v152, 0x3836, v96, v99
	v_fma_f16 v153, v156, 0xbacd, -v153
	v_fmac_f16_e32 v99, 0xb836, v96
	v_sub_f16_e64 v96, v246, v234
	v_fma_f16 v156, 0x2de8, v157, v158
	v_mul_f16_e64 v159, 0x2de8, v101
	v_add_f16_e64 v152, v152, v154
	v_add_f16_e64 v18, v153, v18
	v_add_f16_e32 v93, v99, v93
	v_add_f16_e64 v16, v156, v16
	v_fma_f16 v99, 0x3bf7, v96, v159
	v_mul_f16_e64 v153, 0xb1e1, v155
	v_fma_f16 v154, v157, 0x2de8, -v158
	v_mul_f16_e64 v156, 0xbbdd, v101
	v_mul_f16_e64 v158, 0x3bb2, v155
	v_add_f16_e32 v17, v99, v17
	v_fma_f16 v99, 0xbbdd, v157, v153
	v_add_f16_e64 v100, v154, v100
	v_fma_f16 v154, 0x31e1, v96, v156
	v_fmac_f16_e64 v159, 0xbbf7, v96
	v_fmac_f16_e64 v156, 0xb1e1, v96
	v_add_f16_e32 v99, v99, v108
	v_fma_f16 v108, v157, 0xbbdd, -v153
	v_add_f16_e64 v114, v154, v114
	v_fma_f16 v153, 0xb461, v157, v158
	v_mul_f16_e64 v154, 0xb461, v101
	v_add_f16_e64 v104, v159, v104
	v_mul_f16_e64 v159, 0x3b76, v101
	v_add_f16_e32 v102, v108, v102
	v_add_f16_e64 v118, v153, v118
	v_fma_f16 v153, 0xbbb2, v96, v154
	v_fmac_f16_e64 v154, 0x3bb2, v96
	v_add_f16_e64 v106, v156, v106
	v_mul_f16_e64 v108, 0x35c8, v155
	v_fma_f16 v156, v157, 0xb461, -v158
	v_add_f16_e64 v110, v153, v110
	v_add_f16_e64 v116, v154, v116
	v_fma_f16 v153, 0xb5c8, v96, v159
	v_mul_f16_e64 v154, 0xbb29, v155
	v_fma_f16 v158, 0x3b76, v157, v108
	v_add_f16_e64 v112, v156, v112
	v_fma_f16 v108, v157, 0x3b76, -v108
	v_fmac_f16_e64 v159, 0x35c8, v96
	v_mul_f16_e64 v156, 0x3722, v101
	v_add_f16_e64 v128, v153, v128
	v_fma_f16 v153, 0x3722, v157, v154
	v_add_f16_e64 v126, v158, v126
	v_add_f16_e32 v108, v108, v122
	v_add_f16_e64 v122, v159, v124
	v_fma_f16 v124, 0x3b29, v96, v156
	v_mul_f16_e64 v158, 0xb836, v155
	v_add_f16_e64 v127, v153, v127
	v_fma_f16 v153, v157, 0x3722, -v154
	v_fmac_f16_e64 v156, 0xbb29, v96
	v_add_f16_e64 v124, v124, v137
	v_fma_f16 v137, 0xbacd, v157, v158
	v_mul_f16_e64 v154, 0xbacd, v101
	v_add_f16_e64 v120, v153, v120
	v_mul_f16_e64 v153, 0x3a62, v155
	v_add_f16_e64 v139, v160, v139
	v_add_f16_e64 v131, v156, v131
	;; [unrolled: 1-line block ×3, first 2 shown]
	v_fma_f16 v141, 0x3836, v96, v154
	v_fma_f16 v156, v157, 0xbacd, -v158
	v_fmac_f16_e64 v154, 0xb836, v96
	v_fma_f16 v158, 0xb8d2, v157, v153
	v_mul_f16_e64 v159, 0xb8d2, v101
	v_add_f16_e64 v133, v141, v133
	v_mul_f16_e32 v101, 0x39e9, v101
	v_add_f16_e64 v139, v154, v139
	v_add_f16_e64 v141, v158, v148
	v_fma_f16 v148, 0xba62, v96, v159
	v_mul_f16_e64 v154, 0x3964, v155
	v_fma_f16 v153, v157, 0xb8d2, -v153
	v_fma_f16 v155, 0xb964, v96, v101
	v_add_f16_e64 v135, v156, v135
	v_add_f16_e64 v142, v148, v142
	v_fma_f16 v148, 0x39e9, v157, v154
	v_add_f16_e64 v144, v153, v144
	v_sub_f16_e64 v153, v235, v103
	v_add_f16_e64 v103, v235, v103
	v_fmac_f16_e64 v159, 0x3a62, v96
	v_add_f16_e64 v148, v148, v150
	v_add_f16_e64 v150, v155, v152
	;; [unrolled: 1-line block ×3, first 2 shown]
	v_mul_f16_e64 v155, 0xbbb2, v153
	v_fma_f16 v154, v157, 0x39e9, -v154
	v_fmac_f16_e32 v101, 0x3964, v96
	v_sub_f16_e64 v96, v197, v233
	v_mul_f16_e64 v156, 0xb461, v103
	v_fma_f16 v157, 0xb461, v152, v155
	v_add_f16_e64 v18, v154, v18
	v_add_f16_e32 v93, v101, v93
	v_mul_f16_e64 v101, 0x3836, v153
	v_fma_f16 v154, 0x3bb2, v96, v156
	v_add_f16_e64 v16, v157, v16
	v_fmac_f16_e64 v156, 0xbbb2, v96
	v_fma_f16 v155, v152, 0xb461, -v155
	v_fma_f16 v157, 0xbacd, v152, v101
	v_add_f16_e64 v17, v154, v17
	v_mul_f16_e64 v154, 0xbacd, v103
	v_add_f16_e64 v104, v156, v104
	v_fma_f16 v101, v152, 0xbacd, -v101
	v_add_f16_e64 v99, v157, v99
	v_mul_f16_e64 v157, 0x39e9, v103
	v_fma_f16 v156, 0xb836, v96, v154
	v_fmac_f16_e64 v154, 0x3836, v96
	v_add_f16_e64 v100, v155, v100
	v_mul_f16_e64 v155, 0x3964, v153
	v_add_f16_e32 v101, v101, v102
	v_add_f16_e64 v114, v156, v114
	v_add_f16_e64 v102, v154, v106
	v_fma_f16 v106, 0xb964, v96, v157
	v_fma_f16 v158, 0x39e9, v152, v155
	v_mul_f16_e64 v154, 0xbb29, v153
	v_fma_f16 v155, v152, 0x39e9, -v155
	v_fmac_f16_e64 v157, 0x3964, v96
	v_add_f16_e32 v106, v106, v110
	v_mul_f16_e32 v110, 0x3722, v103
	v_fma_f16 v156, 0x3722, v152, v154
	v_add_f16_e64 v112, v155, v112
	v_add_f16_e64 v116, v157, v116
	v_mul_f16_e64 v155, 0xb1e1, v153
	v_fma_f16 v157, 0x3b29, v96, v110
	v_add_f16_e64 v126, v156, v126
	v_fma_f16 v154, v152, 0x3722, -v154
	v_fmac_f16_e32 v110, 0xbb29, v96
	v_fma_f16 v156, 0xbbdd, v152, v155
	v_add_f16_e64 v128, v157, v128
	v_mul_f16_e64 v157, 0xbbdd, v103
	v_add_f16_e64 v108, v154, v108
	v_add_f16_e32 v110, v110, v122
	v_add_f16_e64 v122, v156, v127
	v_mul_f16_e64 v156, 0x2de8, v103
	v_fma_f16 v154, 0x31e1, v96, v157
	v_mul_f16_e64 v127, 0x3bf7, v153
	v_add_f16_e64 v118, v158, v118
	v_fma_f16 v155, v152, 0xbbdd, -v155
	v_add_f16_e64 v146, v159, v146
	v_add_f16_e64 v124, v154, v124
	v_fma_f16 v154, 0xbbf7, v96, v156
	v_fma_f16 v158, 0x2de8, v152, v127
	v_fma_f16 v127, v152, 0x2de8, -v127
	v_fmac_f16_e64 v156, 0x3bf7, v96
	v_add_f16_e64 v120, v155, v120
	v_add_f16_e64 v133, v154, v133
	v_mul_f16_e64 v154, 0x3b76, v103
	v_mul_f16_e64 v155, 0xb5c8, v153
	v_add_f16_e64 v127, v127, v135
	v_add_f16_e64 v135, v156, v139
	v_mul_f16_e64 v139, 0xba62, v153
	v_fma_f16 v153, 0x35c8, v96, v154
	v_fmac_f16_e64 v157, 0xb1e1, v96
	v_fmac_f16_e64 v154, 0xb5c8, v96
	v_mul_f16_e32 v103, 0xb8d2, v103
	v_fma_f16 v156, 0xb8d2, v152, v139
	v_add_f16_e64 v142, v153, v142
	v_sub_f16_e64 v153, v125, v105
	v_add_f16_e32 v105, v125, v105
	v_add_f16_e64 v131, v157, v131
	v_fma_f16 v157, 0x3b76, v152, v155
	v_fma_f16 v155, v152, 0x3b76, -v155
	v_add_f16_e64 v146, v154, v146
	v_fma_f16 v154, 0x3a62, v96, v103
	v_fma_f16 v139, v152, 0xb8d2, -v139
	v_add_f16_e64 v125, v123, v195
	v_mul_f16_e64 v152, 0xba62, v153
	v_fmac_f16_e32 v103, 0xba62, v96
	v_sub_f16_e64 v96, v123, v195
	v_mul_f16_e32 v123, 0xb8d2, v105
	v_add_f16_e64 v150, v154, v150
	v_fma_f16 v154, 0xb8d2, v125, v152
	v_add_f16_e64 v18, v139, v18
	v_add_f16_e32 v93, v103, v93
	v_fmamk_f16 v103, v96, 0x3a62, v123
	v_mul_f16_e64 v139, 0x3bb2, v153
	v_fmac_f16_e32 v123, 0xba62, v96
	v_add_f16_e64 v16, v154, v16
	v_fma_f16 v152, v125, 0xb8d2, -v152
	v_add_f16_e32 v17, v103, v17
	v_fma_f16 v103, 0xb461, v125, v139
	v_mul_f16_e64 v154, 0xb461, v105
	v_add_f16_e32 v104, v123, v104
	v_mul_f16_e64 v123, 0xb5c8, v153
	v_add_f16_e64 v144, v155, v144
	v_add_f16_e64 v100, v152, v100
	v_add_f16_e32 v99, v103, v99
	v_fma_f16 v103, 0xbbb2, v96, v154
	v_fma_f16 v139, v125, 0xb461, -v139
	v_fma_f16 v152, 0x3b76, v125, v123
	v_mul_f16_e64 v155, 0x3b76, v105
	v_fmac_f16_e64 v154, 0x3bb2, v96
	v_add_f16_e32 v103, v103, v114
	v_add_f16_e64 v101, v139, v101
	v_add_f16_e64 v114, v152, v118
	v_fma_f16 v118, 0x35c8, v96, v155
	v_mul_f16_e64 v139, 0xb836, v153
	v_fma_f16 v123, v125, 0x3b76, -v123
	v_mul_f16_e64 v152, 0xbacd, v105
	v_add_f16_e64 v102, v154, v102
	v_add_f16_e32 v106, v118, v106
	v_fma_f16 v118, 0xbacd, v125, v139
	v_add_f16_e32 v112, v123, v112
	v_fma_f16 v123, 0x3836, v96, v152
	v_mul_f16_e64 v154, 0x3bf7, v153
	v_fmac_f16_e64 v155, 0xb5c8, v96
	v_add_f16_e32 v118, v118, v126
	v_fma_f16 v126, v125, 0xbacd, -v139
	v_fmac_f16_e64 v152, 0xb836, v96
	v_add_f16_e64 v123, v123, v128
	v_fma_f16 v128, 0x2de8, v125, v154
	v_mul_f16_e64 v139, 0x2de8, v105
	v_add_f16_e32 v108, v126, v108
	v_mul_f16_e64 v126, 0xb964, v153
	v_add_f16_e64 v137, v158, v137
	v_add_f16_e64 v116, v155, v116
	;; [unrolled: 1-line block ×4, first 2 shown]
	v_fma_f16 v128, 0xbbf7, v96, v139
	v_fma_f16 v152, v125, 0x2de8, -v154
	v_fmac_f16_e64 v139, 0x3bf7, v96
	v_fma_f16 v154, 0x39e9, v125, v126
	v_mul_f16_e64 v155, 0x39e9, v105
	v_add_f16_e64 v124, v128, v124
	v_add_f16_e64 v120, v152, v120
	;; [unrolled: 1-line block ×4, first 2 shown]
	v_fma_f16 v137, 0x3964, v96, v155
	v_mul_f16_e64 v139, 0xb1e1, v153
	v_fma_f16 v126, v125, 0x39e9, -v126
	v_mul_f16_e64 v152, 0xbbdd, v105
	v_add_f16_e64 v141, v157, v141
	v_add_f16_e64 v133, v137, v133
	v_fma_f16 v137, 0xbbdd, v125, v139
	v_add_f16_e32 v126, v126, v127
	v_fma_f16 v127, 0x31e1, v96, v152
	v_mul_f16_e64 v153, 0x3b29, v153
	v_add_f16_e64 v148, v156, v148
	v_add_f16_e64 v137, v137, v141
	v_fma_f16 v139, v125, 0xbbdd, -v139
	v_add_f16_e64 v127, v127, v142
	v_fmac_f16_e64 v152, 0xb1e1, v96
	v_fma_f16 v141, 0x3722, v125, v153
	v_sub_f16_e64 v142, v121, v107
	v_mul_f16_e32 v105, 0x3722, v105
	v_add_f16_e64 v139, v139, v144
	v_add_f16_e64 v144, v152, v146
	;; [unrolled: 1-line block ×4, first 2 shown]
	v_mul_f16_e64 v152, 0xb836, v142
	v_add_f16_e32 v107, v121, v107
	v_fmac_f16_e64 v155, 0xb964, v96
	v_fma_f16 v146, 0xbb29, v96, v105
	v_fmac_f16_e32 v105, 0x3b29, v96
	v_sub_f16_e32 v96, v117, v119
	v_fma_f16 v117, 0xbacd, v148, v152
	v_mul_f16_e32 v119, 0xbacd, v107
	v_fma_f16 v121, v125, 0x3722, -v153
	v_add_f16_e32 v93, v105, v93
	v_add_f16_e64 v125, v146, v150
	v_add_f16_e32 v16, v117, v16
	v_fmamk_f16 v105, v96, 0x3836, v119
	v_mul_f16_e64 v117, 0x3b29, v142
	v_add_f16_e32 v18, v121, v18
	v_fma_f16 v121, v148, 0xbacd, -v152
	v_fmac_f16_e32 v119, 0xb836, v96
	v_mul_f16_e64 v146, 0x3722, v107
	v_add_f16_e32 v17, v105, v17
	v_fma_f16 v105, 0x3722, v148, v117
	v_add_f16_e32 v100, v121, v100
	v_add_f16_e32 v104, v119, v104
	v_fma_f16 v119, 0xbb29, v96, v146
	v_mul_f16_e64 v121, 0xbbf7, v142
	v_add_f16_e32 v99, v105, v99
	v_fma_f16 v105, v148, 0x3722, -v117
	v_fmac_f16_e64 v146, 0x3b29, v96
	v_add_f16_e32 v103, v119, v103
	v_fma_f16 v117, 0x2de8, v148, v121
	v_mul_f16_e32 v119, 0x2de8, v107
	v_add_f16_e32 v101, v105, v101
	v_mul_f16_e64 v105, 0x3a62, v142
	v_add_f16_e64 v102, v146, v102
	v_add_f16_e32 v114, v117, v114
	v_fmamk_f16 v117, v96, 0x3bf7, v119
	v_fmac_f16_e32 v119, 0xbbf7, v96
	v_fma_f16 v146, 0xb8d2, v148, v105
	v_mul_f16_e64 v150, 0xb8d2, v107
	v_fma_f16 v121, v148, 0x2de8, -v121
	v_add_f16_e32 v106, v117, v106
	v_add_f16_e32 v116, v119, v116
	v_add_f16_e64 v117, v146, v118
	v_fma_f16 v118, 0xba62, v96, v150
	v_mul_f16_e64 v119, 0xb5c8, v142
	v_add_f16_e32 v112, v121, v112
	v_fma_f16 v105, v148, 0xb8d2, -v105
	v_fmac_f16_e64 v150, 0x3a62, v96
	v_mul_f16_e32 v121, 0x3b76, v107
	v_add_f16_e32 v118, v118, v123
	v_fma_f16 v123, 0x3b76, v148, v119
	v_add_f16_e32 v105, v105, v108
	v_add_f16_e64 v108, v150, v110
	v_fmamk_f16 v110, v96, 0x35c8, v121
	v_fma_f16 v119, v148, 0x3b76, -v119
	v_add_f16_e64 v150, v123, v122
	v_mul_f16_e32 v123, 0xbbdd, v107
	v_mul_f16_e64 v146, 0xb1e1, v142
	v_fmac_f16_e32 v121, 0xb5c8, v96
	v_add_f16_e32 v110, v110, v124
	v_add_f16_e64 v152, v119, v120
	v_fmamk_f16 v120, v96, 0x31e1, v123
	v_mul_f16_e32 v124, 0x39e9, v107
	v_fma_f16 v122, 0xbbdd, v148, v146
	v_add_f16_e64 v128, v121, v128
	v_mul_f16_e64 v119, 0x3964, v142
	v_fma_f16 v121, v148, 0xbbdd, -v146
	v_add_f16_e64 v133, v120, v133
	v_fmamk_f16 v120, v96, 0xb964, v124
	v_fmac_f16_e32 v124, 0x3964, v96
	v_add_f16_e64 v135, v155, v135
	v_add_f16_e64 v131, v122, v131
	v_fma_f16 v122, 0x39e9, v148, v119
	v_add_f16_e64 v146, v121, v126
	v_mul_f16_e64 v121, 0xbbb2, v142
	v_mul_f16_e32 v107, 0xb461, v107
	v_add_f16_e64 v142, v124, v144
	v_sub_f16_e64 v144, v111, v109
	v_add_f16_e64 v155, v111, v109
	v_fmac_f16_e32 v123, 0xb1e1, v96
	v_add_f16_e64 v137, v122, v137
	v_fmamk_f16 v122, v96, 0x3bb2, v107
	v_add_f16_e64 v154, v115, v113
	v_mul_f16_e64 v109, 0xb1e1, v144
	v_fma_f16 v111, v148, 0xb461, -v121
	v_fmac_f16_e32 v107, 0xbbb2, v96
	v_sub_f16_e32 v96, v115, v113
	v_mul_f16_e64 v113, 0xbbdd, v155
	v_fma_f16 v119, v148, 0x39e9, -v119
	v_add_f16_e32 v127, v120, v127
	v_fma_f16 v120, 0xb461, v148, v121
	v_fma_f16 v115, 0xbbdd, v154, v109
	v_add_f16_e32 v18, v111, v18
	v_add_f16_e32 v93, v107, v93
	v_mul_f16_e64 v107, 0x35c8, v144
	v_fmamk_f16 v111, v96, 0x31e1, v113
	v_add_f16_e64 v139, v119, v139
	v_add_f16_e64 v141, v120, v141
	v_add_f16_e32 v119, v115, v16
	v_fma_f16 v16, v154, 0xbbdd, -v109
	v_fmac_f16_e32 v113, 0xb1e1, v96
	v_fma_f16 v109, 0x3b76, v154, v107
	v_add_f16_e32 v120, v111, v17
	v_mul_f16_e64 v111, 0x3b76, v155
	v_add_f16_e32 v16, v16, v100
	v_add_f16_e32 v17, v113, v104
	;; [unrolled: 1-line block ×3, first 2 shown]
	v_mul_f16_e64 v104, 0xb836, v144
	v_fmamk_f16 v99, v96, 0xb5c8, v111
	v_fma_f16 v100, v154, 0x3b76, -v107
	v_mul_f16_e64 v107, 0xbacd, v155
	v_add_f16_e64 v153, v122, v125
	v_fmac_f16_e32 v111, 0x35c8, v96
	v_fma_f16 v109, 0xbacd, v154, v104
	v_add_f16_e32 v122, v99, v103
	v_add_f16_e32 v99, v100, v101
	v_fmamk_f16 v101, v96, 0x3836, v107
	v_fma_f16 v103, v154, 0xbacd, -v104
	v_mul_f16_e64 v104, 0x39e9, v155
	v_lshrrev_b32_e32 v192, 16, v94
	v_add_f16_e32 v100, v111, v102
	v_mul_f16_e64 v102, 0x3964, v144
	v_add_f16_e32 v124, v101, v106
	v_fmac_f16_e32 v107, 0xb836, v96
	v_add_f16_e32 v101, v103, v112
	v_fmamk_f16 v103, v96, 0xb964, v104
	v_fmac_f16_e32 v104, 0x3964, v96
	v_add_f16_e64 v135, v123, v135
	v_add_f16_e32 v123, v109, v114
	v_fma_f16 v106, 0x39e9, v154, v102
	v_fma_f16 v109, v154, 0x39e9, -v102
	v_add_f16_e32 v102, v107, v116
	v_add_f16_e32 v104, v104, v108
	;; [unrolled: 1-line block ×3, first 2 shown]
	v_add_f16_e64 v108, v192, v45
	v_add_f16_e32 v125, v106, v117
	v_add_f16_e32 v126, v103, v118
	;; [unrolled: 1-line block ×3, first 2 shown]
	v_mul_f16_e64 v105, 0xba62, v144
	v_mul_f16_e64 v106, 0xb8d2, v155
	v_add_f16_e32 v107, v107, v41
	v_add_f16_e32 v108, v108, v42
	v_sub_f16_e64 v173, v42, v98
	v_fma_f16 v109, 0xb8d2, v154, v105
	v_fmamk_f16 v111, v96, 0x3a62, v106
	v_add_f16_e32 v107, v107, v38
	v_add_f16_e32 v108, v108, v40
	v_fmac_f16_e32 v106, 0xba62, v96
	v_add_f16_e64 v195, v109, v150
	v_add_f16_e64 v197, v111, v110
	v_mul_f16_e64 v109, 0x3b29, v144
	v_mul_f16_e64 v110, 0x3722, v155
	v_add_f16_e32 v107, v107, v34
	v_add_f16_e32 v108, v108, v37
	v_add_f16_e64 v106, v106, v128
	v_fma_f16 v111, 0x3722, v154, v109
	v_fmamk_f16 v112, v96, 0xbb29, v110
	v_add_f16_e32 v107, v107, v32
	v_add_f16_e32 v113, v108, v35
	v_fma_f16 v114, v154, 0x3722, -v109
	v_add_f16_e64 v108, v111, v131
	v_add_f16_e64 v109, v112, v133
	v_add_f16_e32 v111, v107, v29
	v_add_f16_e32 v112, v113, v31
	v_mul_f16_e64 v113, 0xbbb2, v144
	v_add_f16_e64 v107, v114, v146
	v_mul_f16_e64 v114, 0xb461, v155
	v_add_f16_e32 v111, v111, v28
	v_add_f16_e32 v112, v112, v30
	v_fma_f16 v115, 0xb461, v154, v113
	v_fmac_f16_e32 v110, 0x3b29, v96
	v_fmamk_f16 v117, v96, 0x3bb2, v114
	v_add_f16_e32 v116, v111, v24
	v_add_f16_e32 v112, v112, v25
	v_add_f16_e64 v111, v115, v137
	v_fma_f16 v115, v154, 0xb461, -v113
	v_add_f16_e32 v113, v117, v127
	v_add_f16_e32 v116, v116, v26
	;; [unrolled: 1-line block ×3, first 2 shown]
	v_mul_f16_e64 v117, 0x3bf7, v144
	v_add_f16_e64 v112, v115, v139
	v_mul_f16_e64 v127, 0x2de8, v155
	v_add_f16_e32 v115, v116, v33
	v_add_f16_e32 v116, v118, v36
	v_fma_f16 v118, 0x2de8, v154, v117
	v_fmac_f16_e32 v114, 0xbbb2, v96
	v_fma_f16 v117, v154, 0x2de8, -v117
	v_add_f16_e64 v128, v115, v39
	v_add_f16_e32 v116, v116, v22
	v_add_f16_e64 v115, v118, v141
	v_fmamk_f16 v118, v96, 0xbbf7, v127
	v_fmac_f16_e32 v127, 0x3bf7, v96
	v_add_f16_e64 v128, v128, v43
	v_add_f16_e64 v131, v116, v23
	v_add_f16_e32 v117, v117, v18
	v_fma_f16 v105, v154, 0xb8d2, -v105
	v_add_f16_e64 v116, v118, v153
	v_add_f16_e64 v96, v128, v46
	;; [unrolled: 1-line block ×3, first 2 shown]
	v_add_f16_e32 v118, v127, v93
	v_sub_f16_e32 v93, v45, v19
	v_add_f16_e32 v45, v45, v19
	v_add_f16_e32 v18, v96, v95
	v_add_f16_e64 v96, v128, v97
	v_add_f16_e64 v105, v105, v152
	;; [unrolled: 1-line block ×3, first 2 shown]
	v_mul_f16_e64 v128, 0xb5c8, v93
	v_sub_f16_e64 v44, v44, v199
	v_add_f16_e32 v96, v96, v98
	v_mul_f16_e64 v131, 0x3b76, v45
	v_mul_f16_e64 v139, 0x39e9, v45
	;; [unrolled: 1-line block ×4, first 2 shown]
	v_add_f16_e32 v19, v96, v19
	v_mul_f16_e32 v96, 0xb964, v93
	v_mul_f16_e64 v150, 0xbbf7, v93
	v_mul_f16_e64 v152, 0x2de8, v45
	;; [unrolled: 1-line block ×8, first 2 shown]
	v_mul_f16_e32 v93, 0xb1e1, v93
	v_mul_f16_e32 v45, 0xbbdd, v45
	v_add_f16_e32 v42, v42, v98
	v_add_f16_e64 v110, v110, v135
	v_add_f16_e64 v114, v114, v142
	v_fma_f16 v133, 0x3b76, v127, v128
	v_fma_f16 v135, 0x35c8, v44, v131
	v_fma_f16 v128, v127, 0x3b76, -v128
	v_fmac_f16_e64 v131, 0xb5c8, v44
	v_fma_f16 v137, 0x39e9, v127, v96
	v_fma_f16 v142, 0x3964, v44, v139
	v_fma_f16 v96, v127, 0x39e9, -v96
	v_fmac_f16_e64 v139, 0xb964, v44
	;; [unrolled: 4-line block ×7, first 2 shown]
	v_fma_f16 v171, 0xbbdd, v127, v93
	v_fma_f16 v178, 0x31e1, v44, v45
	v_fma_f16 v93, v127, 0xbbdd, -v93
	v_add_f16_e64 v98, v41, v198
	v_mul_f16_e64 v127, 0xb964, v173
	v_fmac_f16_e32 v45, 0xb1e1, v44
	v_sub_f16_e64 v41, v41, v198
	v_mul_f16_e32 v44, 0x39e9, v42
	v_add_f16_e64 v133, v94, v133
	v_add_f16_e64 v135, v192, v135
	;; [unrolled: 1-line block ×4, first 2 shown]
	v_add_f16_e32 v96, v94, v96
	v_add_f16_e64 v146, v94, v146
	v_add_f16_e64 v141, v94, v141
	;; [unrolled: 1-line block ×11, first 2 shown]
	v_fma_f16 v180, 0x39e9, v98, v127
	v_add_f16_e32 v93, v94, v93
	v_fmamk_f16 v94, v41, 0x3964, v44
	v_mul_f16_e64 v182, 0xbbf7, v173
	v_fma_f16 v127, v98, 0x39e9, -v127
	v_add_f16_e64 v131, v192, v131
	v_add_f16_e64 v133, v180, v133
	v_fmac_f16_e32 v44, 0xb964, v41
	v_add_f16_e64 v94, v94, v135
	v_fma_f16 v135, 0x2de8, v98, v182
	v_mul_f16_e64 v180, 0x2de8, v42
	v_add_f16_e64 v127, v127, v128
	v_mul_f16_e64 v128, 0xba62, v173
	v_add_f16_e64 v142, v192, v142
	v_add_f16_e64 v139, v192, v139
	;; [unrolled: 1-line block ×4, first 2 shown]
	v_fma_f16 v135, 0x3bf7, v41, v180
	v_fma_f16 v137, v98, 0x2de8, -v182
	v_fmac_f16_e64 v180, 0xbbf7, v41
	v_fma_f16 v182, 0xb8d2, v98, v128
	v_mul_f16_e64 v183, 0xb8d2, v42
	v_add_f16_e64 v148, v192, v148
	v_add_f16_e64 v144, v192, v144
	v_add_f16_e64 v135, v135, v142
	v_add_f16_e64 v96, v137, v96
	v_add_f16_e64 v137, v180, v139
	v_add_f16_e64 v139, v182, v146
	v_fma_f16 v142, 0x3a62, v41, v183
	v_mul_f16_e64 v146, 0xb1e1, v173
	v_fma_f16 v128, v98, 0xb8d2, -v128
	v_fmac_f16_e64 v183, 0xba62, v41
	v_mul_f16_e64 v180, 0xbbdd, v42
	v_add_f16_e64 v155, v192, v155
	v_add_f16_e64 v152, v192, v152
	;; [unrolled: 1-line block ×3, first 2 shown]
	v_fma_f16 v148, 0xbbdd, v98, v146
	v_add_f16_e64 v128, v128, v141
	v_add_f16_e64 v141, v183, v144
	v_fma_f16 v144, 0x31e1, v41, v180
	v_mul_f16_e64 v182, 0x3836, v173
	v_fma_f16 v146, v98, 0xbbdd, -v146
	v_fmac_f16_e64 v180, 0xb1e1, v41
	v_add_f16_e64 v148, v148, v153
	v_add_f16_e64 v144, v144, v155
	v_fma_f16 v153, 0xbacd, v98, v182
	v_mul_f16_e64 v155, 0xbacd, v42
	v_add_f16_e64 v146, v146, v150
	v_add_f16_e64 v150, v180, v152
	v_mul_f16_e64 v152, 0x3bb2, v173
	v_add_f16_e64 v159, v192, v159
	v_add_f16_e64 v157, v192, v157
	;; [unrolled: 1-line block ×3, first 2 shown]
	v_fma_f16 v156, 0xb836, v41, v155
	v_fma_f16 v180, v98, 0xbacd, -v182
	v_fmac_f16_e64 v155, 0x3836, v41
	v_fma_f16 v182, 0xb461, v98, v152
	v_mul_f16_e64 v183, 0xb461, v42
	v_add_f16_e64 v162, v192, v162
	v_add_f16_e64 v156, v156, v159
	;; [unrolled: 1-line block ×4, first 2 shown]
	v_fma_f16 v159, 0xbbb2, v41, v183
	v_mul_f16_e64 v161, 0x3b29, v173
	v_add_f16_e64 v154, v180, v154
	v_fma_f16 v152, v98, 0xb461, -v152
	v_mul_f16_e64 v180, 0x3722, v42
	v_add_f16_e64 v159, v159, v162
	v_fma_f16 v162, 0x3722, v98, v161
	v_mul_f16_e64 v173, 0x35c8, v173
	v_fma_f16 v161, v98, 0x3722, -v161
	v_add_f16_e64 v165, v192, v165
	v_add_f16_e64 v152, v152, v158
	v_fma_f16 v158, 0xbb29, v41, v180
	v_add_f16_e64 v162, v162, v167
	v_fmac_f16_e64 v180, 0x3b29, v41
	v_fma_f16 v167, 0x3b76, v98, v173
	v_add_f16_e64 v161, v161, v163
	v_sub_f16_e64 v163, v40, v97
	v_add_f16_e64 v169, v192, v169
	v_mul_f16_e32 v42, 0x3b76, v42
	v_add_f16_e64 v165, v180, v165
	v_add_f16_e64 v167, v167, v171
	;; [unrolled: 1-line block ×3, first 2 shown]
	v_mul_f16_e64 v180, 0xbb29, v163
	v_add_f16_e32 v40, v40, v97
	v_add_f16_e64 v178, v192, v178
	v_add_f16_e64 v45, v192, v45
	v_fmac_f16_e64 v183, 0x3bb2, v41
	v_add_f16_e64 v158, v158, v169
	v_fma_f16 v169, 0xb5c8, v41, v42
	v_fma_f16 v97, v98, 0x3b76, -v173
	v_fmac_f16_e32 v42, 0x35c8, v41
	v_sub_f16_e32 v38, v38, v95
	v_fma_f16 v41, 0x3722, v171, v180
	v_mul_f16_e32 v95, 0x3722, v40
	v_add_f16_e64 v98, v169, v178
	v_add_f16_e32 v93, v97, v93
	v_add_f16_e32 v42, v42, v45
	v_add_f16_e64 v41, v41, v133
	v_fmamk_f16 v45, v38, 0x3b29, v95
	v_mul_f16_e64 v97, 0xba62, v163
	v_fma_f16 v133, v171, 0x3722, -v180
	v_fmac_f16_e32 v95, 0xbb29, v38
	v_mul_f16_e64 v169, 0xb8d2, v40
	v_add_f16_e32 v45, v45, v94
	v_fma_f16 v94, 0xb8d2, v171, v97
	v_add_f16_e64 v127, v133, v127
	v_add_f16_e32 v44, v95, v44
	v_fma_f16 v95, 0x3a62, v38, v169
	v_mul_f16_e64 v133, 0x31e1, v163
	v_fma_f16 v97, v171, 0xb8d2, -v97
	v_fmac_f16_e64 v169, 0xba62, v38
	v_add_f16_e64 v94, v94, v131
	v_add_f16_e64 v95, v95, v135
	v_fma_f16 v131, 0xbbdd, v171, v133
	v_mul_f16_e64 v135, 0xbbdd, v40
	v_add_f16_e32 v96, v97, v96
	v_add_f16_e64 v97, v169, v137
	v_mul_f16_e64 v137, 0x3bb2, v163
	v_add_f16_e64 v131, v131, v139
	v_fma_f16 v139, 0xb1e1, v38, v135
	v_fma_f16 v133, v171, 0xbbdd, -v133
	v_fmac_f16_e64 v135, 0x31e1, v38
	v_fma_f16 v169, 0xb461, v171, v137
	v_mul_f16_e64 v173, 0xb461, v40
	v_add_f16_e64 v139, v139, v142
	v_add_f16_e64 v128, v133, v128
	;; [unrolled: 1-line block ×4, first 2 shown]
	v_fma_f16 v141, 0xbbb2, v38, v173
	v_mul_f16_e64 v142, 0x3964, v163
	v_fma_f16 v137, v171, 0xb461, -v137
	v_fmac_f16_e64 v173, 0x3bb2, v38
	v_mul_f16_e64 v148, 0x39e9, v40
	v_add_f16_e64 v141, v141, v144
	v_fma_f16 v144, 0x39e9, v171, v142
	v_add_f16_e64 v137, v137, v146
	v_add_f16_e64 v146, v173, v150
	v_fma_f16 v150, 0xb964, v38, v148
	v_mul_f16_e64 v169, 0xb5c8, v163
	v_fma_f16 v142, v171, 0x39e9, -v142
	v_add_f16_e64 v160, v192, v160
	v_add_f16_e64 v144, v144, v153
	v_fmac_f16_e64 v148, 0x3964, v38
	v_add_f16_e64 v150, v150, v156
	v_fma_f16 v153, 0x3b76, v171, v169
	v_mul_f16_e64 v156, 0x3b76, v40
	v_add_f16_e64 v142, v142, v154
	v_mul_f16_e64 v154, 0xbbf7, v163
	v_add_f16_e64 v160, v183, v160
	v_add_f16_e64 v148, v148, v155
	;; [unrolled: 1-line block ×3, first 2 shown]
	v_fma_f16 v155, 0x35c8, v38, v156
	v_fma_f16 v157, v171, 0x3b76, -v169
	v_fmac_f16_e64 v156, 0xb5c8, v38
	v_fma_f16 v169, 0x2de8, v171, v154
	v_mul_f16_e64 v173, 0x2de8, v40
	v_mul_f16_e32 v40, 0xbacd, v40
	v_add_f16_e64 v152, v157, v152
	v_add_f16_e64 v156, v156, v160
	;; [unrolled: 1-line block ×3, first 2 shown]
	v_mul_f16_e64 v160, 0xb836, v163
	v_fma_f16 v162, 0x3836, v38, v40
	v_sub_f16_e64 v163, v37, v47
	v_add_f16_e64 v155, v155, v159
	v_fma_f16 v159, 0x3bf7, v38, v173
	v_add_f16_e32 v37, v37, v47
	v_add_f16_e64 v98, v162, v98
	v_add_f16_e64 v162, v34, v46
	v_mul_f16_e64 v47, 0xbbf7, v163
	v_fmac_f16_e32 v40, 0xb836, v38
	v_fmac_f16_e64 v173, 0xbbf7, v38
	v_add_f16_e64 v158, v159, v158
	v_fma_f16 v159, 0xbacd, v171, v160
	v_fma_f16 v160, v171, 0xbacd, -v160
	v_sub_f16_e32 v34, v34, v46
	v_mul_f16_e32 v38, 0x2de8, v37
	v_fma_f16 v46, 0x2de8, v162, v47
	v_add_f16_e32 v40, v40, v42
	v_mul_f16_e64 v42, 0xb1e1, v163
	v_add_f16_e64 v93, v160, v93
	v_fma_f16 v160, 0x3bf7, v34, v38
	v_add_f16_e32 v41, v46, v41
	v_fma_f16 v46, v162, 0x2de8, -v47
	v_fmac_f16_e32 v38, 0xbbf7, v34
	v_fma_f16 v47, 0xbbdd, v162, v42
	v_fma_f16 v154, v171, 0x2de8, -v154
	v_add_f16_e64 v45, v160, v45
	v_mul_f16_e64 v160, 0xbbdd, v37
	v_add_f16_e32 v46, v46, v127
	v_add_f16_e32 v38, v38, v44
	;; [unrolled: 1-line block ×3, first 2 shown]
	v_mul_f16_e64 v47, 0x3bb2, v163
	v_fma_f16 v42, v162, 0xbbdd, -v42
	v_mul_f16_e32 v127, 0xb461, v37
	v_add_f16_e64 v154, v154, v161
	v_add_f16_e64 v161, v173, v165
	v_fma_f16 v94, 0x31e1, v34, v160
	v_fmac_f16_e64 v160, 0xb1e1, v34
	v_fma_f16 v165, 0xb461, v162, v47
	v_add_f16_e32 v42, v42, v96
	v_fmamk_f16 v96, v34, 0xbbb2, v127
	v_add_f16_e32 v94, v94, v95
	v_add_f16_e64 v95, v160, v97
	v_add_f16_e64 v97, v165, v131
	v_mul_f16_e64 v131, 0x35c8, v163
	v_fma_f16 v47, v162, 0xb461, -v47
	v_fmac_f16_e32 v127, 0x3bb2, v34
	v_add_f16_e64 v96, v96, v139
	v_mul_f16_e64 v139, 0x3b76, v37
	v_fma_f16 v160, 0x3b76, v162, v131
	v_add_f16_e64 v47, v47, v128
	v_add_f16_e64 v127, v127, v133
	v_mul_f16_e64 v128, 0xbb29, v163
	v_fma_f16 v133, 0xb5c8, v34, v139
	v_add_f16_e64 v135, v160, v135
	v_fma_f16 v131, v162, 0x3b76, -v131
	v_fmac_f16_e64 v139, 0x35c8, v34
	v_fma_f16 v160, 0x3722, v162, v128
	v_add_f16_e64 v133, v133, v141
	v_mul_f16_e64 v141, 0x3722, v37
	v_add_f16_e64 v131, v131, v137
	v_add_f16_e64 v137, v139, v146
	;; [unrolled: 1-line block ×3, first 2 shown]
	v_mul_f16_e64 v144, 0xb836, v163
	v_fma_f16 v146, 0x3b29, v34, v141
	v_fma_f16 v128, v162, 0x3722, -v128
	v_mul_f16_e64 v160, 0xbacd, v37
	v_fmac_f16_e64 v141, 0xbb29, v34
	v_fma_f16 v165, 0xbacd, v162, v144
	v_add_f16_e64 v146, v146, v150
	v_add_f16_e64 v128, v128, v142
	v_fma_f16 v142, 0x3836, v34, v160
	v_mul_f16_e64 v150, 0x3a62, v163
	v_fma_f16 v144, v162, 0xbacd, -v144
	v_fmac_f16_e64 v160, 0xb836, v34
	v_add_f16_e64 v159, v159, v167
	v_add_f16_e64 v142, v142, v155
	v_fma_f16 v155, 0xb8d2, v162, v150
	v_add_f16_e64 v144, v144, v152
	v_add_f16_e64 v152, v160, v156
	v_mul_f16_e64 v156, 0x3964, v163
	v_add_f16_e64 v141, v141, v148
	v_add_f16_e64 v148, v165, v153
	v_mul_f16_e64 v153, 0xb8d2, v37
	v_add_f16_e64 v155, v155, v157
	v_fma_f16 v150, v162, 0xb8d2, -v150
	v_fma_f16 v157, 0x39e9, v162, v156
	v_mul_f16_e32 v37, 0x39e9, v37
	v_fma_f16 v160, 0xba62, v34, v153
	v_fmac_f16_e64 v153, 0x3a62, v34
	v_add_f16_e64 v150, v150, v154
	v_add_f16_e64 v154, v157, v159
	v_sub_f16_e64 v157, v35, v23
	v_add_f16_e32 v23, v35, v23
	v_add_f16_e64 v158, v160, v158
	v_fma_f16 v159, 0xb964, v34, v37
	v_fma_f16 v156, v162, 0x39e9, -v156
	v_add_f16_e32 v35, v32, v43
	v_mul_f16_e64 v160, 0xbbb2, v157
	v_fmac_f16_e32 v37, 0x3964, v34
	v_sub_f16_e32 v32, v32, v43
	v_mul_f16_e32 v34, 0xb461, v23
	v_add_f16_e64 v43, v159, v98
	v_fma_f16 v98, 0xb461, v35, v160
	v_add_f16_e64 v93, v156, v93
	v_add_f16_e32 v37, v37, v40
	v_fmamk_f16 v40, v32, 0x3bb2, v34
	v_mul_f16_e64 v156, 0x3836, v157
	v_fmac_f16_e32 v34, 0xbbb2, v32
	v_add_f16_e32 v41, v98, v41
	v_fma_f16 v98, v35, 0xb461, -v160
	v_add_f16_e32 v40, v40, v45
	v_fma_f16 v45, 0xbacd, v35, v156
	v_mul_f16_e64 v159, 0xbacd, v23
	v_add_f16_e32 v34, v34, v38
	v_mul_f16_e64 v38, 0x3964, v157
	v_add_f16_e32 v46, v98, v46
	v_add_f16_e32 v44, v45, v44
	v_fma_f16 v45, 0xb836, v32, v159
	v_fma_f16 v98, v35, 0xbacd, -v156
	v_fmac_f16_e64 v159, 0x3836, v32
	v_fma_f16 v156, 0x39e9, v35, v38
	v_mul_f16_e64 v160, 0x39e9, v23
	v_add_f16_e32 v45, v45, v94
	v_add_f16_e32 v42, v98, v42
	v_add_f16_e64 v94, v159, v95
	v_add_f16_e64 v95, v156, v97
	v_fma_f16 v97, 0xb964, v32, v160
	v_mul_f16_e64 v98, 0xbb29, v157
	v_fma_f16 v38, v35, 0x39e9, -v38
	v_fmac_f16_e64 v160, 0x3964, v32
	v_mul_f16_e64 v156, 0x3722, v23
	v_add_f16_e32 v96, v97, v96
	v_fmamk_f16 v97, v35, 0x3722, v98
	v_add_f16_e32 v38, v38, v47
	v_add_f16_e64 v47, v160, v127
	v_fma_f16 v127, 0x3b29, v32, v156
	v_mul_f16_e64 v159, 0xb1e1, v157
	v_fma_f16 v98, v35, 0x3722, -v98
	v_fmac_f16_e64 v156, 0xbb29, v32
	v_add_f16_e64 v97, v97, v135
	v_add_f16_e64 v127, v127, v133
	v_fma_f16 v133, 0xbbdd, v35, v159
	v_mul_f16_e64 v135, 0xbbdd, v23
	v_add_f16_e64 v98, v98, v131
	v_add_f16_e64 v131, v156, v137
	v_mul_f16_e64 v137, 0x3bf7, v157
	v_add_f16_e64 v133, v133, v139
	v_fma_f16 v139, 0x31e1, v32, v135
	v_fma_f16 v156, v35, 0xbbdd, -v159
	v_fmac_f16_e64 v135, 0xb1e1, v32
	v_fma_f16 v159, 0x2de8, v35, v137
	v_mul_f16_e64 v160, 0x2de8, v23
	v_add_f16_e64 v139, v139, v146
	v_add_f16_e64 v128, v156, v128
	;; [unrolled: 1-line block ×4, first 2 shown]
	v_fma_f16 v146, 0xbbf7, v32, v160
	v_mul_f16_e64 v148, 0xb5c8, v157
	v_fma_f16 v137, v35, 0x2de8, -v137
	v_mul_f16_e64 v156, 0x3b76, v23
	v_add_f16_e64 v153, v153, v161
	v_add_f16_e64 v142, v146, v142
	v_fma_f16 v146, 0x3b76, v35, v148
	v_fma_f16 v148, v35, 0x3b76, -v148
	v_add_f16_e64 v137, v137, v144
	v_fma_f16 v144, 0x35c8, v32, v156
	v_mul_f16_e64 v157, 0xba62, v157
	v_fmac_f16_e64 v156, 0xb5c8, v32
	v_add_f16_e64 v148, v148, v150
	v_sub_f16_e64 v150, v31, v22
	v_add_f16_e64 v146, v146, v155
	v_add_f16_e64 v144, v144, v158
	v_fma_f16 v155, 0xb8d2, v35, v157
	v_mul_f16_e32 v23, 0xb8d2, v23
	v_add_f16_e64 v153, v156, v153
	v_add_f16_e64 v156, v29, v39
	v_mul_f16_e64 v158, 0xba62, v150
	v_add_f16_e32 v22, v31, v22
	v_fmac_f16_e64 v160, 0x3bf7, v32
	v_add_f16_e64 v154, v155, v154
	v_fma_f16 v155, 0x3a62, v32, v23
	v_fma_f16 v31, v35, 0xb8d2, -v157
	v_fmac_f16_e32 v23, 0xba62, v32
	v_sub_f16_e32 v29, v29, v39
	v_fma_f16 v32, 0xb8d2, v156, v158
	v_mul_f16_e32 v35, 0xb8d2, v22
	v_add_f16_e64 v39, v155, v43
	v_add_f16_e32 v31, v31, v93
	v_add_f16_e32 v23, v23, v37
	;; [unrolled: 1-line block ×3, first 2 shown]
	v_fmamk_f16 v37, v29, 0x3a62, v35
	v_mul_f16_e64 v41, 0x3bb2, v150
	v_fma_f16 v43, v156, 0xb8d2, -v158
	v_fmac_f16_e32 v35, 0xba62, v29
	v_mul_f16_e32 v93, 0xb461, v22
	v_add_f16_e32 v37, v37, v40
	v_fma_f16 v40, 0xb461, v156, v41
	v_add_f16_e32 v43, v43, v46
	v_add_f16_e32 v34, v35, v34
	v_fmamk_f16 v35, v29, 0xbbb2, v93
	v_mul_f16_e64 v46, 0xb5c8, v150
	v_fma_f16 v41, v156, 0xb461, -v41
	v_fmac_f16_e32 v93, 0x3bb2, v29
	v_add_f16_e32 v40, v40, v44
	v_add_f16_e32 v35, v35, v45
	v_fma_f16 v44, 0x3b76, v156, v46
	v_mul_f16_e32 v45, 0x3b76, v22
	v_add_f16_e32 v41, v41, v42
	v_add_f16_e32 v42, v93, v94
	v_mul_f16_e64 v93, 0xb836, v150
	v_add_f16_e32 v44, v44, v95
	v_fmamk_f16 v94, v29, 0x35c8, v45
	v_fma_f16 v46, v156, 0x3b76, -v46
	v_fmac_f16_e32 v45, 0xb5c8, v29
	v_fma_f16 v95, 0xbacd, v156, v93
	v_mul_f16_e64 v155, 0xbacd, v22
	v_add_f16_e32 v94, v94, v96
	v_add_f16_e32 v38, v46, v38
	;; [unrolled: 1-line block ×4, first 2 shown]
	v_fma_f16 v47, 0x3836, v29, v155
	v_mul_f16_e64 v95, 0x3bf7, v150
	v_fma_f16 v93, v156, 0xbacd, -v93
	v_fmac_f16_e64 v155, 0xb836, v29
	v_mul_f16_e32 v96, 0x2de8, v22
	v_add_f16_e32 v47, v47, v127
	v_fma_f16 v97, 0x2de8, v156, v95
	v_add_f16_e32 v93, v93, v98
	v_add_f16_e64 v98, v155, v131
	v_fmamk_f16 v127, v29, 0xbbf7, v96
	v_mul_f16_e64 v131, 0xb964, v150
	v_fma_f16 v95, v156, 0x2de8, -v95
	v_add_f16_e64 v97, v97, v133
	v_fmac_f16_e32 v96, 0x3bf7, v29
	v_add_f16_e64 v127, v127, v139
	v_fma_f16 v133, 0x39e9, v156, v131
	v_mul_f16_e64 v139, 0x39e9, v22
	v_add_f16_e64 v95, v95, v128
	v_mul_f16_e64 v128, 0xb1e1, v150
	v_add_f16_e64 v152, v160, v152
	v_add_f16_e64 v96, v96, v135
	;; [unrolled: 1-line block ×3, first 2 shown]
	v_fma_f16 v135, 0x3964, v29, v139
	v_fma_f16 v131, v156, 0x39e9, -v131
	v_fmac_f16_e64 v139, 0xb964, v29
	v_fma_f16 v141, 0xbbdd, v156, v128
	v_mul_f16_e64 v155, 0xbbdd, v22
	v_mul_f16_e32 v22, 0x3722, v22
	v_add_f16_e64 v135, v135, v142
	v_add_f16_e64 v131, v131, v137
	;; [unrolled: 1-line block ×4, first 2 shown]
	v_fma_f16 v141, 0x31e1, v29, v155
	v_mul_f16_e64 v142, 0x3b29, v150
	v_fma_f16 v146, 0xbb29, v29, v22
	v_sub_f16_e64 v150, v30, v36
	v_add_f16_e32 v30, v30, v36
	v_fmac_f16_e64 v155, 0xb1e1, v29
	v_add_f16_e64 v141, v141, v144
	v_fma_f16 v144, 0x3722, v156, v142
	v_add_f16_e64 v39, v146, v39
	v_add_f16_e64 v146, v28, v33
	v_mul_f16_e64 v36, 0xb836, v150
	v_fma_f16 v142, v156, 0x3722, -v142
	v_fmac_f16_e32 v22, 0x3b29, v29
	v_sub_f16_e32 v28, v28, v33
	v_mul_f16_e32 v29, 0xbacd, v30
	v_fma_f16 v33, 0xbacd, v146, v36
	v_add_f16_e64 v31, v142, v31
	v_add_f16_e32 v22, v22, v23
	v_mul_f16_e64 v23, 0x3b29, v150
	v_fma_f16 v142, 0x3836, v28, v29
	v_fmac_f16_e32 v29, 0xb836, v28
	v_add_f16_e32 v32, v33, v32
	v_fma_f16 v33, v146, 0xbacd, -v36
	v_fma_f16 v36, 0x3722, v146, v23
	v_add_f16_e64 v37, v142, v37
	v_mul_f16_e64 v142, 0x3722, v30
	v_add_f16_e32 v34, v29, v34
	v_mul_f16_e64 v29, 0xbbf7, v150
	v_add_f16_e32 v33, v33, v43
	v_add_f16_e32 v36, v36, v40
	v_fma_f16 v40, 0xbb29, v28, v142
	v_fma_f16 v23, v146, 0x3722, -v23
	v_fmac_f16_e64 v142, 0x3b29, v28
	v_mul_f16_e32 v43, 0x2de8, v30
	v_fma_f16 v152, 0x2de8, v146, v29
	v_add_f16_e32 v35, v40, v35
	v_add_f16_e32 v40, v23, v41
	v_add_f16_e64 v41, v142, v42
	v_fmamk_f16 v23, v28, 0x3bf7, v43
	v_add_f16_e64 v42, v152, v44
	v_mul_f16_e64 v44, 0x3a62, v150
	v_fma_f16 v29, v146, 0x2de8, -v29
	v_fmac_f16_e32 v43, 0xbbf7, v28
	v_add_f16_e32 v94, v23, v94
	v_mul_f16_e32 v23, 0xb8d2, v30
	v_fma_f16 v142, 0xb8d2, v146, v44
	v_add_f16_e32 v38, v29, v38
	v_mul_f16_e64 v29, 0xb5c8, v150
	v_add_f16_e32 v43, v43, v45
	v_fmamk_f16 v45, v28, 0xba62, v23
	v_add_f16_e64 v46, v142, v46
	v_fma_f16 v44, v146, 0xb8d2, -v44
	v_fmac_f16_e32 v23, 0x3a62, v28
	v_fma_f16 v142, 0x3b76, v146, v29
	v_add_f16_e32 v45, v45, v47
	v_mul_f16_e32 v47, 0x3b76, v30
	v_add_f16_e32 v44, v44, v93
	v_add_f16_e32 v93, v23, v98
	v_add_f16_e64 v97, v142, v97
	v_mul_f16_e64 v23, 0xb1e1, v150
	v_fma_f16 v29, v146, 0x3b76, -v29
	v_mul_f16_e64 v142, 0xbbdd, v30
	v_fmamk_f16 v98, v28, 0x35c8, v47
	v_fmac_f16_e32 v47, 0xb5c8, v28
	v_fma_f16 v152, 0xbbdd, v146, v23
	v_add_f16_e32 v95, v29, v95
	v_fma_f16 v29, 0x31e1, v28, v142
	v_add_f16_e32 v98, v98, v127
	v_add_f16_e32 v47, v47, v96
	v_add_f16_e64 v96, v152, v133
	v_mul_f16_e64 v127, 0x3964, v150
	v_fma_f16 v23, v146, 0xbbdd, -v23
	v_fmac_f16_e64 v142, 0xb1e1, v28
	v_add_f16_e64 v133, v29, v135
	v_mul_f16_e32 v29, 0x39e9, v30
	v_fma_f16 v135, 0x39e9, v146, v127
	v_add_f16_e64 v131, v23, v131
	v_add_f16_e64 v137, v142, v137
	v_mul_f16_e64 v23, 0xbbb2, v150
	v_fma_f16 v142, 0xb964, v28, v29
	v_fma_f16 v128, v156, 0xbbdd, -v128
	v_add_f16_e64 v144, v144, v154
	v_add_f16_e64 v135, v135, v139
	v_fma_f16 v139, 0xb461, v146, v23
	v_add_f16_e64 v141, v142, v141
	v_sub_f16_e64 v142, v25, v27
	v_add_f16_e64 v128, v128, v148
	v_add_f16_e64 v148, v155, v153
	v_fma_f16 v127, v146, 0x39e9, -v127
	v_fmac_f16_e32 v29, 0x3964, v28
	v_mul_f16_e32 v30, 0xb461, v30
	v_add_f16_e64 v139, v139, v144
	v_fma_f16 v23, v146, 0xb461, -v23
	v_add_f16_e64 v144, v25, v27
	v_add_f16_e64 v146, v24, v26
	v_mul_f16_e64 v25, 0xb1e1, v142
	v_add_f16_e64 v127, v127, v128
	v_add_f16_e64 v128, v29, v148
	v_fmamk_f16 v29, v28, 0x3bb2, v30
	v_fmac_f16_e32 v30, 0xbbb2, v28
	v_sub_f16_e64 v148, v24, v26
	v_mul_f16_e64 v24, 0xbbdd, v144
	v_fma_f16 v26, 0xbbdd, v146, v25
	v_mul_f16_e64 v27, 0x35c8, v142
	v_add_f16_e64 v152, v23, v31
	v_add_f16_e64 v153, v30, v22
	v_fma_f16 v22, 0x31e1, v148, v24
	v_add_f16_e32 v28, v26, v32
	v_fma_f16 v23, v146, 0xbbdd, -v25
	v_fmac_f16_e64 v24, 0xb1e1, v148
	v_fma_f16 v25, 0x3b76, v146, v27
	v_mul_f16_e64 v26, 0x3b76, v144
	v_mul_f16_e64 v31, 0xb836, v142
	v_add_f16_e64 v150, v29, v39
	v_add_f16_e32 v29, v22, v37
	v_add_f16_e32 v22, v23, v33
	;; [unrolled: 1-line block ×4, first 2 shown]
	v_fma_f16 v24, 0xb5c8, v148, v26
	v_fma_f16 v25, v146, 0x3b76, -v27
	v_fmac_f16_e64 v26, 0x35c8, v148
	v_fma_f16 v27, 0xbacd, v146, v31
	v_mul_f16_e64 v32, 0xbacd, v144
	v_add_f16_e32 v33, v24, v35
	v_add_f16_e32 v24, v25, v40
	;; [unrolled: 1-line block ×4, first 2 shown]
	v_fma_f16 v26, 0x3836, v148, v32
	v_mul_f16_e64 v36, 0x3964, v142
	v_fma_f16 v27, v146, 0xbacd, -v31
	v_fmac_f16_e64 v32, 0xb836, v148
	v_mul_f16_e64 v37, 0x39e9, v144
	v_add_f16_e32 v35, v26, v94
	v_fma_f16 v31, 0x39e9, v146, v36
	v_add_f16_e32 v26, v27, v38
	v_add_f16_e32 v27, v32, v43
	v_fma_f16 v32, 0xb964, v148, v37
	v_mul_f16_e64 v41, 0xba62, v142
	v_add_f16_e32 v38, v31, v46
	v_fma_f16 v31, v146, 0x39e9, -v36
	v_fmac_f16_e64 v37, 0x3964, v148
	v_add_f16_e32 v39, v32, v45
	v_fma_f16 v36, 0xb8d2, v146, v41
	v_mul_f16_e64 v42, 0xb8d2, v144
	v_mul_f16_e64 v45, 0x3b29, v142
	v_add_f16_e32 v32, v37, v93
	v_fma_f16 v37, v146, 0xb8d2, -v41
	v_add_f16_e32 v40, v36, v97
	v_fma_f16 v36, 0x3a62, v148, v42
	v_fmac_f16_e64 v42, 0xba62, v148
	v_fma_f16 v41, 0x3722, v146, v45
	v_mul_f16_e64 v46, 0x3722, v144
	v_add_f16_e32 v31, v31, v44
	v_add_f16_e32 v43, v36, v98
	;; [unrolled: 1-line block ×5, first 2 shown]
	v_fma_f16 v41, 0xbb29, v148, v46
	v_mul_f16_e64 v47, 0xbbb2, v142
	v_fma_f16 v42, v146, 0x3722, -v45
	v_fmac_f16_e64 v46, 0x3b29, v148
	v_mul_f16_e64 v93, 0xb461, v144
	v_add_f16_e64 v45, v41, v133
	v_fma_f16 v94, 0xb461, v146, v47
	v_add_f16_e64 v41, v42, v131
	v_add_f16_e64 v42, v46, v137
	v_fma_f16 v46, 0x3bb2, v148, v93
	v_fma_f16 v95, v146, 0xb461, -v47
	v_mul_f16_e64 v96, 0x3bf7, v142
	v_mul_f16_e64 v98, 0x2de8, v144
	v_add_f16_e64 v18, v18, v198
	v_add_f16_e64 v47, v94, v135
	;; [unrolled: 1-line block ×3, first 2 shown]
	v_add_f16_e32 v46, v95, v127
	v_fma_f16 v95, 0x2de8, v146, v96
	v_fma_f16 v97, 0xbbf7, v148, v98
	v_fma_f16 v127, v146, 0x2de8, -v96
	v_fmac_f16_e64 v98, 0x3bf7, v148
	v_add_f16_e64 v18, v18, v199
	v_fmac_f16_e64 v93, 0xbbb2, v148
	v_pack_b32_f16 v20, v20, v21
	v_pack_b32_f16 v21, v119, v120
	;; [unrolled: 1-line block ×12, first 2 shown]
	v_add_f16_e64 v95, v95, v139
	v_add_f16_e64 v96, v97, v150
	;; [unrolled: 1-line block ×4, first 2 shown]
	v_pack_b32_f16 v105, v105, v106
	v_pack_b32_f16 v103, v103, v104
	;; [unrolled: 1-line block ×3, first 2 shown]
	v_add_f16_e64 v93, v93, v128
	global_wb scope:SCOPE_SE
	s_barrier_signal -1
	s_barrier_wait -1
	global_inv scope:SCOPE_SE
	ds_store_2addr_b32 v149, v20, v21 offset1:7
	ds_store_2addr_b32 v149, v119, v120 offset0:14 offset1:21
	ds_store_2addr_b32 v149, v121, v122 offset0:28 offset1:35
	v_pack_b32_f16 v20, v101, v102
	v_pack_b32_f16 v21, v99, v100
	;; [unrolled: 1-line block ×4, first 2 shown]
	ds_store_2addr_b32 v149, v108, v109 offset0:42 offset1:49
	ds_store_2addr_b32 v149, v111, v113 offset0:56 offset1:63
	;; [unrolled: 1-line block ×5, first 2 shown]
	v_pack_b32_f16 v19, v30, v33
	v_pack_b32_f16 v20, v34, v35
	;; [unrolled: 1-line block ×6, first 2 shown]
	ds_store_b32 v149, v16 offset:448
	ds_store_2addr_b32 v151, v17, v18 offset1:7
	ds_store_2addr_b32 v151, v19, v20 offset0:14 offset1:21
	ds_store_2addr_b32 v151, v21, v28 offset0:28 offset1:35
	ds_store_2addr_b32 v151, v29, v30 offset0:42 offset1:49
	v_pack_b32_f16 v16, v95, v96
	v_pack_b32_f16 v17, v97, v98
	;; [unrolled: 1-line block ×9, first 2 shown]
	ds_store_2addr_b32 v151, v16, v17 offset0:56 offset1:63
	ds_store_2addr_b32 v151, v18, v19 offset0:70 offset1:77
	;; [unrolled: 1-line block ×4, first 2 shown]
	ds_store_b32 v151, v22 offset:448
	s_and_saveexec_b32 s0, vcc_lo
	s_cbranch_execz .LBB0_9
; %bb.8:
	v_lshrrev_b32_e32 v17, 16, v15
	v_lshrrev_b32_e32 v18, 16, v13
	;; [unrolled: 1-line block ×3, first 2 shown]
	v_mov_b32_e32 v232, v190
	v_mov_b32_e32 v190, v164
	v_mul_f16_e32 v16, v17, v80
	v_mul_f16_e64 v20, v17, v250
	v_lshrrev_b32_e32 v17, 16, v14
	v_mul_f16_e64 v24, v18, v254
	v_mul_f16_e32 v18, v18, v84
	v_mul_f16_e64 v27, v19, v136
	v_mul_f16_e32 v19, v19, v83
	;; [unrolled: 2-line block ×3, first 2 shown]
	v_fmac_f16_e32 v24, v13, v84
	v_fma_f16 v28, v13, v254, -v18
	v_lshrrev_b32_e32 v13, 16, v4
	v_fmac_f16_e32 v22, v14, v79
	v_fmac_f16_e32 v27, v12, v83
	v_fma_f16 v26, v14, v252, -v17
	v_fma_f16 v29, v12, v136, -v19
	v_mul_f16_e32 v12, v13, v77
	v_mul_f16_e64 v45, v13, v249
	v_lshrrev_b32_e32 v13, 16, v5
	v_lshrrev_b32_e32 v14, 16, v6
	v_fmac_f16_e32 v20, v15, v80
	v_fma_f16 v25, v15, v250, -v16
	v_lshrrev_b32_e32 v15, 16, v7
	v_mul_f16_e64 v38, v13, v251
	v_mul_f16_e32 v13, v13, v78
	v_mul_f16_e64 v36, v14, v253
	v_mul_f16_e32 v14, v14, v81
	v_fmac_f16_e32 v45, v4, v77
	v_fmac_f16_e32 v38, v5, v78
	v_mul_f16_e64 v34, v15, v255
	v_fmac_f16_e32 v36, v6, v81
	v_mul_f16_e32 v15, v15, v82
	v_fma_f16 v40, v4, v249, -v12
	v_fma_f16 v41, v5, v251, -v13
	;; [unrolled: 1-line block ×3, first 2 shown]
	v_lshrrev_b32_e32 v4, 16, v11
	v_lshrrev_b32_e32 v5, 16, v10
	;; [unrolled: 1-line block ×3, first 2 shown]
	v_fmac_f16_e32 v34, v7, v82
	v_fma_f16 v37, v7, v255, -v15
	v_mul_f16_e64 v31, v4, v132
	v_mul_f16_e32 v4, v4, v88
	v_mul_f16_e64 v33, v5, v138
	v_mul_f16_e32 v5, v5, v87
	v_mul_f16_e64 v35, v6, v143
	v_lshrrev_b32_e32 v7, 16, v8
	v_mul_f16_e32 v6, v6, v92
	v_fma_f16 v80, v11, v132, -v4
	v_fma_f16 v82, v10, v138, -v5
	v_fmac_f16_e32 v35, v9, v92
	v_mul_f16_e64 v92, v7, v147
	v_mul_f16_e32 v7, v7, v91
	v_lshrrev_b32_e32 v4, 16, v0
	v_lshrrev_b32_e32 v5, 16, v1
	v_add_f16_e64 v135, v25, v40
	v_fmac_f16_e32 v92, v8, v91
	v_fma_f16 v101, v8, v147, -v7
	v_mul_f16_e64 v113, v4, v129
	v_mul_f16_e32 v4, v4, v85
	v_mul_f16_e64 v112, v5, v134
	v_mul_f16_e32 v5, v5, v86
	v_sub_f16_e32 v8, v45, v20
	v_mul_f16_e64 v96, 0xbbdd, v135
	v_add_f16_e64 v152, v26, v41
	v_fmac_f16_e32 v33, v10, v87
	v_fma_f16 v87, v9, v143, -v6
	v_fmac_f16_e32 v113, v0, v85
	v_lshrrev_b32_e32 v6, 16, v2
	v_lshrrev_b32_e32 v7, 16, v3
	v_fma_f16 v120, v0, v129, -v4
	v_fma_f16 v119, v1, v134, -v5
	v_fmamk_f16 v0, v8, 0x31e1, v96
	v_mul_f16_e64 v98, 0x3b76, v152
	v_sub_f16_e32 v5, v38, v22
	v_add_f16_e64 v153, v28, v39
	v_fmac_f16_e32 v112, v1, v86
	v_mul_f16_e64 v110, v6, v140
	v_mul_f16_e64 v108, v7, v145
	v_mul_f16_e32 v7, v7, v90
	v_add_f16_e64 v0, v216, v0
	v_fmamk_f16 v1, v5, 0xb5c8, v98
	v_mul_f16_e64 v94, 0xbacd, v153
	v_sub_f16_e32 v4, v36, v24
	v_add_f16_e64 v243, v29, v37
	v_fmac_f16_e32 v31, v11, v88
	v_mul_f16_e32 v6, v6, v89
	v_fmac_f16_e32 v110, v2, v89
	v_fmac_f16_e32 v108, v3, v90
	v_fma_f16 v111, v3, v145, -v7
	v_add_f16_e32 v0, v1, v0
	v_fmamk_f16 v1, v4, 0x3836, v94
	v_mul_f16_e64 v89, 0x39e9, v243
	v_sub_f16_e32 v3, v34, v27
	v_add_f16_e64 v239, v80, v120
	v_fma_f16 v115, v2, v140, -v6
	v_add_f16_e32 v0, v1, v0
	v_sub_f16_e32 v2, v113, v31
	v_fmamk_f16 v1, v3, 0xb964, v89
	v_mul_f16_e64 v85, 0xb8d2, v239
	v_add_f16_e64 v224, v82, v119
	v_add_f16_e64 v221, v87, v115
	v_sub_f16_e64 v220, v40, v25
	v_add_f16_e32 v0, v1, v0
	v_fmamk_f16 v1, v2, 0x3a62, v85
	v_mul_f16_e64 v84, 0x3722, v224
	v_mul_f16_e64 v78, 0xb461, v221
	v_add_f16_e32 v12, v20, v45
	v_mul_f16_e64 v77, 0xb1e1, v220
	v_add_f16_e32 v0, v1, v0
	v_sub_f16_e32 v1, v112, v33
	v_sub_f16_e64 v222, v41, v26
	v_add_f16_e32 v10, v22, v38
	v_sub_f16_e64 v218, v39, v28
	v_add_f16_e32 v9, v24, v36
	v_fmamk_f16 v6, v1, 0xbb29, v84
	v_mul_f16_e64 v79, 0x35c8, v222
	v_sub_f16_e64 v217, v37, v29
	v_mul_f16_e64 v46, 0xb836, v218
	v_sub_f16_e64 v147, v120, v80
	v_add_f16_e32 v6, v6, v0
	v_sub_f16_e32 v0, v110, v35
	v_mul_f16_e64 v43, 0x3964, v217
	v_sub_f16_e64 v219, v119, v82
	v_mul_f16_e64 v42, 0xba62, v147
	v_mul_f16_e64 v86, 0xbacd, v135
	v_fmamk_f16 v7, v0, 0x3bb2, v78
	v_mul_f16_e64 v88, 0x3722, v152
	v_mul_f16_e64 v47, 0x3b29, v219
	v_add_f16_e64 v198, v101, v111
	v_sub_f16_e64 v229, v115, v87
	v_add_f16_e32 v11, v7, v6
	v_fmamk_f16 v6, v12, 0xbbdd, v77
	v_fmamk_f16 v7, v10, 0x3b76, v79
	v_mul_f16_e64 v109, 0x2de8, v198
	v_mul_f16_e64 v81, 0xbbb2, v229
	;; [unrolled: 1-line block ×3, first 2 shown]
	v_add_f16_e64 v6, v188, v6
	v_mul_f16_e64 v90, 0xb8d2, v243
	v_mul_f16_e64 v103, 0x3b76, v239
	;; [unrolled: 1-line block ×4, first 2 shown]
	v_add_f16_e32 v6, v7, v6
	v_fmamk_f16 v7, v9, 0xbacd, v46
	v_mul_f16_e64 v116, 0x3b29, v222
	v_sub_f16_e64 v252, v111, v101
	v_mul_f16_e64 v107, 0x39e9, v221
	v_mul_f16_e64 v118, 0xbbf7, v218
	v_add_f16_e32 v6, v7, v6
	v_add_f16_e32 v7, v27, v34
	v_fmamk_f16 v19, v10, 0x3722, v116
	v_mul_f16_e64 v104, 0x3bf7, v252
	v_mul_f16_e64 v125, 0x3a62, v217
	;; [unrolled: 1-line block ×3, first 2 shown]
	v_fmamk_f16 v13, v7, 0x39e9, v43
	v_mul_f16_e64 v105, 0xb8d2, v135
	v_mul_f16_e64 v91, 0xb461, v152
	;; [unrolled: 1-line block ×4, first 2 shown]
	v_add_f16_e32 v13, v13, v6
	v_add_f16_e32 v6, v31, v113
	v_fmamk_f16 v23, v5, 0xbbb2, v91
	v_mul_f16_e64 v138, 0xb461, v198
	v_mul_f16_e64 v151, 0x3964, v229
	v_mul_f16_e64 v95, 0xbacd, v243
	v_fmamk_f16 v14, v6, 0xb8d2, v42
	v_mul_f16_e64 v100, 0x2de8, v239
	v_mul_f16_e64 v97, 0x39e9, v224
	;; [unrolled: 1-line block ×4, first 2 shown]
	v_add_f16_e32 v14, v14, v13
	v_add_f16_e32 v13, v33, v112
	v_mul_f16_e64 v223, 0xbbb2, v252
	v_mul_f16_e64 v106, 0xbbdd, v221
	v_fmamk_f16 v30, v10, 0xb461, v122
	v_mul_f16_e64 v126, 0xb5c8, v218
	v_fmamk_f16 v15, v13, 0x3722, v47
	v_mul_f16_e64 v143, 0xb836, v217
	v_mul_f16_e64 v136, 0x3bf7, v147
	v_mul_f16_e64 v225, 0xb461, v135
	v_mul_f16_e64 v226, 0xbacd, v152
	v_add_f16_e32 v16, v15, v14
	v_fmamk_f16 v14, v8, 0x3836, v86
	v_fmamk_f16 v15, v5, 0xbb29, v88
	v_mul_f16_e64 v192, 0xb964, v219
	v_fma_f16 v32, 0xb836, v5, v226
	v_mul_f16_e64 v228, 0x39e9, v153
	v_add_f16_e64 v14, v216, v14
	v_mul_f16_e64 v134, 0x3722, v198
	v_mul_f16_e64 v199, 0xb1e1, v229
	;; [unrolled: 1-line block ×4, first 2 shown]
	v_add_f16_e32 v17, v15, v14
	v_sub_f16_e32 v14, v108, v92
	v_mul_f16_e64 v237, 0x2de8, v224
	v_mul_f16_e64 v149, 0xbbb2, v220
	;; [unrolled: 1-line block ×4, first 2 shown]
	v_fmamk_f16 v15, v14, 0xbbf7, v109
	v_mul_f16_e64 v227, 0x3b76, v221
	v_mul_f16_e64 v123, 0x3964, v218
	v_fma_f16 v44, 0xbacd, v10, v195
	v_mul_f16_e64 v132, 0xbb29, v217
	v_add_f16_e32 v11, v15, v11
	v_add_f16_e32 v15, v35, v110
	v_mul_f16_e64 v129, 0xb1e1, v147
	v_mul_f16_e64 v230, 0x2de8, v135
	;; [unrolled: 1-line block ×3, first 2 shown]
	scratch_store_b32 off, v11, off offset:248 ; 4-byte Folded Spill
	v_fmamk_f16 v18, v15, 0xb461, v81
	v_mul_f16_e64 v145, 0x3bf7, v219
	v_mul_f16_e64 v238, 0xb461, v153
	v_fma_f16 v83, 0x31e1, v5, v231
	v_mul_f16_e64 v253, 0xb8d2, v198
	v_add_f16_e32 v16, v18, v16
	v_fmamk_f16 v18, v4, 0x3bf7, v99
	v_mul_f16_e64 v197, 0xb5c8, v229
	v_mul_f16_e64 v241, 0x3b76, v243
	;; [unrolled: 1-line block ×4, first 2 shown]
	v_add_f16_e32 v17, v18, v17
	v_fmamk_f16 v18, v3, 0xba62, v90
	v_mul_f16_e64 v254, 0xbbf7, v220
	v_mul_f16_e64 v255, 0xb1e1, v222
	;; [unrolled: 1-line block ×4, first 2 shown]
	v_add_f16_e32 v17, v18, v17
	v_fmamk_f16 v18, v2, 0x35c8, v103
	v_fma_f16 v117, 0xbbdd, v10, v255
	v_mul_f16_e64 v178, 0x3bb2, v218
	v_mul_f16_e64 v131, 0x35c8, v217
	;; [unrolled: 1-line block ×3, first 2 shown]
	v_add_f16_e32 v17, v18, v17
	v_fmamk_f16 v18, v1, 0x31e1, v102
	v_mul_f16_e64 v249, 0x3722, v135
	v_mul_f16_e64 v234, 0xb8d2, v152
	;; [unrolled: 1-line block ×4, first 2 shown]
	v_add_f16_e32 v18, v18, v17
	v_fmamk_f16 v17, v12, 0xbacd, v114
	v_fma_f16 v127, 0x3a62, v5, v234
	v_mul_f16_e64 v139, 0x39e9, v198
	v_mul_f16_e64 v148, 0x3a62, v229
	;; [unrolled: 1-line block ×3, first 2 shown]
	v_add_f16_e64 v17, v188, v17
	v_mul_f16_e64 v244, 0x39e9, v239
	v_mul_f16_e64 v242, 0x3b76, v224
	;; [unrolled: 1-line block ×4, first 2 shown]
	v_add_f16_e32 v19, v19, v17
	v_add_f16_e32 v17, v92, v108
	v_mul_f16_e64 v154, 0x3964, v252
	v_mul_f16_e64 v250, 0x2de8, v221
	v_fma_f16 v133, 0xb8d2, v10, v183
	v_mul_f16_e64 v142, 0x3bb2, v217
	v_fmamk_f16 v21, v17, 0x2de8, v104
	v_mul_f16_e64 v160, 0x39e9, v135
	v_mul_f16_e64 v162, 0x2de8, v152
	;; [unrolled: 1-line block ×4, first 2 shown]
	v_add_f16_e32 v11, v21, v16
	v_fmamk_f16 v21, v0, 0xb964, v107
	v_fma_f16 v146, 0x3bf7, v5, v162
	v_mul_f16_e64 v157, 0xbbf7, v229
	v_mul_f16_e64 v163, 0xbbdd, v243
	scratch_store_b32 off, v11, off offset:252 ; 4-byte Folded Spill
	v_add_f16_e32 v18, v21, v18
	v_fmamk_f16 v21, v9, 0x2de8, v118
	v_mul_f16_e64 v169, 0xbacd, v239
	v_mul_f16_e64 v167, 0xb461, v224
	;; [unrolled: 1-line block ×4, first 2 shown]
	v_add_f16_e32 v19, v21, v19
	v_fmamk_f16 v21, v7, 0xb8d2, v125
	v_mov_b32_e32 v16, v185
	v_mul_f16_e64 v185, 0xba62, v218
	v_fma_f16 v158, 0x2de8, v10, v180
	v_mul_f16_e64 v173, 0x3b76, v135
	v_add_f16_e32 v19, v21, v19
	v_fmamk_f16 v21, v6, 0x3b76, v124
	v_add_f16_e64 v45, v188, v45
	v_mov_b32_e32 v164, v76
	v_fma_f16 v135, 0x35c8, v8, v173
	v_mov_b32_e32 v76, v215
	v_add_f16_e32 v19, v21, v19
	v_fmamk_f16 v21, v8, 0x3a62, v105
	v_mov_b32_e32 v215, v212
	v_add_f16_e64 v135, v216, v135
	v_dual_mov_b32 v212, v209 :: v_dual_mov_b32 v209, v205
	s_delay_alu instid0(VALU_DEP_4)
	v_add_f16_e64 v21, v216, v21
	v_mov_b32_e32 v205, v201
	v_mov_b32_e32 v201, v177
	v_add_f16_e32 v45, v38, v45
	v_add_f16_e64 v38, v40, v216
	v_add_f16_e32 v21, v23, v21
	v_fma_f16 v23, 0xbbdd, v13, v140
	v_fmac_f16_e32 v96, 0xb1e1, v8
	v_add_f16_e32 v36, v36, v45
	v_add_f16_e32 v40, v41, v38
	v_mul_f16_e64 v38, 0x2de8, v243
	v_add_f16_e32 v19, v23, v19
	v_fmamk_f16 v23, v4, 0x35c8, v93
	v_fmac_f16_e32 v98, 0x35c8, v5
	v_add_f16_e32 v40, v39, v40
	v_fmamk_f16 v41, v3, 0x3bf7, v38
	v_mul_f16_e64 v39, 0xb461, v239
	v_add_f16_e32 v21, v23, v21
	v_fma_f16 v23, 0x3bb2, v14, v138
	v_add_f16_e32 v37, v37, v40
	v_fmac_f16_e32 v94, 0xb836, v4
	v_fmamk_f16 v45, v2, 0x3bb2, v39
	v_fmac_f16_e32 v89, 0x3964, v3
	v_add_f16_e32 v11, v23, v18
	v_fma_f16 v23, 0x39e9, v15, v151
	v_dual_mov_b32 v18, v213 :: v_dual_mov_b32 v213, v172
	v_mov_b32_e32 v172, v170
	scratch_store_b32 off, v11, off offset:256 ; 4-byte Folded Spill
	v_add_f16_e32 v19, v23, v19
	v_fmamk_f16 v23, v3, 0x3836, v95
	v_mov_b32_e32 v170, v210
	v_dual_mov_b32 v210, v207 :: v_dual_mov_b32 v207, v203
	v_mov_b32_e32 v203, v166
	s_delay_alu instid0(VALU_DEP_4)
	v_add_f16_e32 v21, v23, v21
	v_fmamk_f16 v23, v2, 0xbbf7, v100
	v_mov_b32_e32 v166, v175
	v_fmac_f16_e32 v86, 0xb836, v8
	v_fmac_f16_e32 v85, 0xba62, v2
	;; [unrolled: 1-line block ×3, first 2 shown]
	v_add_f16_e32 v21, v23, v21
	v_fmamk_f16 v23, v1, 0x3964, v97
	v_fmac_f16_e32 v84, 0x3b29, v1
	v_fma_f16 v46, v9, 0xbacd, -v46
	v_fmac_f16_e32 v99, 0xbbf7, v4
	v_fmac_f16_e32 v78, 0xbbb2, v0
	v_add_f16_e32 v21, v23, v21
	v_fmamk_f16 v23, v12, 0xb8d2, v121
	v_fma_f16 v43, v7, 0x39e9, -v43
	v_fmac_f16_e32 v90, 0x3a62, v3
	v_fma_f16 v42, v6, 0xb8d2, -v42
	v_fmac_f16_e32 v103, 0xb5c8, v2
	v_add_f16_e64 v23, v188, v23
	v_fmac_f16_e64 v162, 0xbbf7, v5
	v_fmac_f16_e32 v105, 0xba62, v8
	v_fmac_f16_e32 v91, 0x3bb2, v5
	v_fmac_f16_e64 v226, 0x3836, v5
	v_add_f16_e32 v23, v30, v23
	v_fma_f16 v30, 0xb461, v17, v223
	v_fmac_f16_e64 v231, 0xb1e1, v5
	v_fmac_f16_e64 v234, 0xba62, v5
	;; [unrolled: 1-line block ×3, first 2 shown]
	v_fmac_f16_e32 v93, 0xb5c8, v4
	v_add_f16_e32 v11, v30, v19
	v_fmamk_f16 v30, v0, 0x31e1, v106
	v_fmac_f16_e32 v95, 0xb836, v3
	v_fmac_f16_e32 v38, 0xbbf7, v3
	;; [unrolled: 1-line block ×3, first 2 shown]
	scratch_store_b32 off, v11, off offset:260 ; 4-byte Folded Spill
	v_add_f16_e32 v21, v30, v21
	v_fmamk_f16 v30, v9, 0x3b76, v126
	v_dual_mov_b32 v11, v200 :: v_dual_mov_b32 v200, v186
	v_mov_b32_e32 v186, v176
	v_mov_b32_e32 v176, v174
	s_delay_alu instid0(VALU_DEP_4)
	v_add_f16_e32 v23, v30, v23
	v_fma_f16 v30, 0xbacd, v7, v143
	v_mov_b32_e32 v174, v168
	v_mov_b32_e32 v168, v206
	;; [unrolled: 1-line block ×4, first 2 shown]
	v_add_f16_e32 v23, v30, v23
	v_fma_f16 v30, 0x2de8, v6, v136
	v_dual_mov_b32 v196, v193 :: v_dual_mov_b32 v193, v189
	v_dual_mov_b32 v189, v184 :: v_dual_mov_b32 v184, v179
	s_delay_alu instid0(VALU_DEP_3)
	v_add_f16_e32 v23, v30, v23
	v_fma_f16 v30, 0x3bb2, v8, v225
	v_fmac_f16_e64 v225, 0xbbb2, v8
	v_fmac_f16_e32 v39, 0xbbb2, v2
	v_fmac_f16_e32 v102, 0xb1e1, v1
	;; [unrolled: 1-line block ×3, first 2 shown]
	v_add_f16_e64 v30, v216, v30
	v_fmac_f16_e32 v107, 0x3964, v0
	v_fmac_f16_e32 v106, 0xb1e1, v0
	;; [unrolled: 1-line block ×3, first 2 shown]
	v_fmac_f16_e64 v138, 0xbbb2, v14
	v_add_f16_e32 v30, v32, v30
	v_fma_f16 v32, 0x39e9, v13, v192
	s_delay_alu instid0(VALU_DEP_1) | instskip(SKIP_2) | instid1(VALU_DEP_2)
	v_add_f16_e32 v23, v32, v23
	v_fma_f16 v32, 0xb964, v4, v228
	v_fmac_f16_e64 v228, 0x3964, v4
	v_add_f16_e32 v30, v32, v30
	v_fma_f16 v32, 0xbb29, v14, v134
	v_fmac_f16_e64 v134, 0x3b29, v14
	s_delay_alu instid0(VALU_DEP_2) | instskip(SKIP_1) | instid1(VALU_DEP_1)
	v_add_f16_e32 v21, v32, v21
	v_fma_f16 v32, 0xbbdd, v15, v199
	v_add_f16_e32 v23, v32, v23
	v_fma_f16 v32, 0x3b29, v3, v233
	v_fmac_f16_e64 v233, 0xbb29, v3
	s_delay_alu instid0(VALU_DEP_2) | instskip(SKIP_2) | instid1(VALU_DEP_2)
	v_add_f16_e32 v30, v32, v30
	v_fma_f16 v32, 0x31e1, v2, v240
	v_fmac_f16_e64 v240, 0xb1e1, v2
	v_add_f16_e32 v30, v32, v30
	v_fma_f16 v32, 0xbbf7, v1, v237
	v_fmac_f16_e64 v237, 0x3bf7, v1
	s_delay_alu instid0(VALU_DEP_2) | instskip(SKIP_1) | instid1(VALU_DEP_1)
	v_add_f16_e32 v30, v32, v30
	v_fma_f16 v32, 0xb461, v12, v149
	v_add_f16_e64 v32, v188, v32
	s_delay_alu instid0(VALU_DEP_1) | instskip(SKIP_1) | instid1(VALU_DEP_1)
	v_add_f16_e32 v32, v44, v32
	v_fma_f16 v44, 0x3722, v17, v248
	v_add_f16_e32 v23, v44, v23
	v_fma_f16 v44, 0x35c8, v0, v227
	v_fmac_f16_e64 v227, 0xb5c8, v0
	s_delay_alu instid0(VALU_DEP_2) | instskip(SKIP_1) | instid1(VALU_DEP_1)
	v_add_f16_e32 v30, v44, v30
	v_fmamk_f16 v44, v9, 0x39e9, v123
	v_add_f16_e32 v32, v44, v32
	v_fma_f16 v44, 0x3722, v7, v132
	s_delay_alu instid0(VALU_DEP_1) | instskip(SKIP_1) | instid1(VALU_DEP_1)
	v_add_f16_e32 v32, v44, v32
	v_fma_f16 v44, 0xbbdd, v6, v129
	v_add_f16_e32 v32, v44, v32
	v_fma_f16 v44, 0x3bf7, v8, v230
	v_fmac_f16_e64 v230, 0xbbf7, v8
	s_delay_alu instid0(VALU_DEP_2) | instskip(NEXT) | instid1(VALU_DEP_1)
	v_add_f16_e64 v44, v216, v44
	v_add_f16_e32 v44, v83, v44
	v_fma_f16 v83, 0x2de8, v13, v145
	s_delay_alu instid0(VALU_DEP_1) | instskip(SKIP_2) | instid1(VALU_DEP_2)
	v_add_f16_e32 v32, v83, v32
	v_fma_f16 v83, 0xbbb2, v4, v238
	v_fmac_f16_e64 v238, 0x3bb2, v4
	v_add_f16_e32 v44, v83, v44
	v_fma_f16 v83, 0x3a62, v14, v253
	v_fmac_f16_e64 v253, 0xba62, v14
	s_delay_alu instid0(VALU_DEP_2) | instskip(SKIP_1) | instid1(VALU_DEP_1)
	v_add_f16_e32 v30, v83, v30
	v_fma_f16 v83, 0x3b76, v15, v197
	v_add_f16_e32 v32, v83, v32
	v_fma_f16 v83, 0xb5c8, v3, v241
	v_fmac_f16_e64 v241, 0x35c8, v3
	s_delay_alu instid0(VALU_DEP_2) | instskip(SKIP_2) | instid1(VALU_DEP_2)
	v_add_f16_e32 v44, v83, v44
	v_fma_f16 v83, 0x3b29, v2, v246
	v_fmac_f16_e64 v246, 0xbb29, v2
	v_add_f16_e32 v44, v83, v44
	v_fma_f16 v83, 0x3836, v1, v245
	v_fmac_f16_e64 v245, 0xb836, v1
	s_delay_alu instid0(VALU_DEP_2) | instskip(SKIP_1) | instid1(VALU_DEP_1)
	v_add_f16_e32 v44, v83, v44
	v_fma_f16 v83, 0x2de8, v12, v254
	v_add_f16_e64 v83, v188, v83
	s_delay_alu instid0(VALU_DEP_1) | instskip(SKIP_1) | instid1(VALU_DEP_1)
	v_add_f16_e32 v83, v117, v83
	v_fma_f16 v117, 0xb8d2, v17, v247
	v_add_f16_e32 v32, v117, v32
	v_fma_f16 v117, 0xba62, v0, v251
	v_fmac_f16_e64 v251, 0x3a62, v0
	s_delay_alu instid0(VALU_DEP_2) | instskip(SKIP_1) | instid1(VALU_DEP_1)
	v_add_f16_e32 v44, v117, v44
	v_fma_f16 v117, 0xb461, v9, v178
	v_add_f16_e32 v83, v117, v83
	v_fma_f16 v117, 0x3b76, v7, v131
	s_delay_alu instid0(VALU_DEP_1) | instskip(SKIP_1) | instid1(VALU_DEP_1)
	v_add_f16_e32 v83, v117, v83
	v_fma_f16 v117, 0x3722, v6, v128
	v_add_f16_e32 v83, v117, v83
	v_fma_f16 v117, 0x3b29, v8, v249
	v_fmac_f16_e64 v249, 0xbb29, v8
	s_delay_alu instid0(VALU_DEP_2) | instskip(NEXT) | instid1(VALU_DEP_1)
	v_add_f16_e64 v117, v216, v117
	v_add_f16_e32 v117, v127, v117
	v_fma_f16 v127, 0xbacd, v13, v141
	s_delay_alu instid0(VALU_DEP_1) | instskip(SKIP_2) | instid1(VALU_DEP_2)
	v_add_f16_e32 v83, v127, v83
	v_fma_f16 v127, 0xb1e1, v4, v235
	v_fmac_f16_e64 v235, 0x31e1, v4
	v_add_f16_e32 v117, v127, v117
	v_fma_f16 v127, 0xb964, v14, v139
	v_fmac_f16_e64 v139, 0x3964, v14
	s_delay_alu instid0(VALU_DEP_2) | instskip(SKIP_1) | instid1(VALU_DEP_1)
	v_add_f16_e32 v44, v127, v44
	v_fma_f16 v127, 0xb8d2, v15, v148
	v_add_f16_e32 v83, v127, v83
	v_fma_f16 v127, 0xbbb2, v3, v236
	v_fmac_f16_e64 v236, 0x3bb2, v3
	s_delay_alu instid0(VALU_DEP_2) | instskip(SKIP_2) | instid1(VALU_DEP_2)
	v_add_f16_e32 v117, v127, v117
	v_fma_f16 v127, 0xb964, v2, v244
	v_fmac_f16_e64 v244, 0x3964, v2
	v_add_f16_e32 v117, v127, v117
	v_fma_f16 v127, 0x35c8, v1, v242
	v_fmac_f16_e64 v242, 0xb5c8, v1
	s_delay_alu instid0(VALU_DEP_2) | instskip(SKIP_1) | instid1(VALU_DEP_1)
	v_add_f16_e32 v117, v127, v117
	v_fma_f16 v127, 0x3722, v12, v182
	v_add_f16_e64 v127, v188, v127
	s_delay_alu instid0(VALU_DEP_1) | instskip(SKIP_1) | instid1(VALU_DEP_1)
	v_add_f16_e64 v127, v133, v127
	v_fma_f16 v133, 0x39e9, v17, v154
	v_add_f16_e64 v83, v133, v83
	v_fma_f16 v133, 0x3bf7, v0, v250
	v_fmac_f16_e64 v250, 0xbbf7, v0
	s_delay_alu instid0(VALU_DEP_2) | instskip(SKIP_1) | instid1(VALU_DEP_1)
	v_add_f16_e64 v117, v133, v117
	v_mul_f16_e64 v133, 0x31e1, v218
	v_fma_f16 v137, 0xbbdd, v9, v133
	s_delay_alu instid0(VALU_DEP_1) | instskip(SKIP_1) | instid1(VALU_DEP_1)
	v_add_f16_e64 v127, v137, v127
	v_fma_f16 v137, 0xb461, v7, v142
	v_add_f16_e64 v127, v137, v127
	v_mul_f16_e64 v137, 0x3964, v147
	s_delay_alu instid0(VALU_DEP_1) | instskip(NEXT) | instid1(VALU_DEP_1)
	v_fma_f16 v144, 0x39e9, v6, v137
	v_add_f16_e64 v127, v144, v127
	v_fma_f16 v144, 0x3964, v8, v160
	v_fmac_f16_e64 v160, 0xb964, v8
	s_delay_alu instid0(VALU_DEP_2) | instskip(NEXT) | instid1(VALU_DEP_1)
	v_add_f16_e64 v144, v216, v144
	v_add_f16_e64 v144, v146, v144
	v_fma_f16 v146, 0x3b76, v13, v150
	s_delay_alu instid0(VALU_DEP_1) | instskip(SKIP_2) | instid1(VALU_DEP_2)
	v_add_f16_e64 v146, v146, v127
	v_fma_f16 v127, 0x3a62, v4, v161
	v_fmac_f16_e64 v161, 0xba62, v4
	v_add_f16_e64 v144, v127, v144
	v_mul_f16_e64 v127, 0xbacd, v198
	s_delay_alu instid0(VALU_DEP_1) | instskip(SKIP_1) | instid1(VALU_DEP_2)
	v_fma_f16 v155, 0x3836, v14, v127
	v_fmac_f16_e32 v127, 0xb836, v14
	v_add_f16_e64 v117, v155, v117
	v_fma_f16 v155, 0x2de8, v15, v157
	s_delay_alu instid0(VALU_DEP_1) | instskip(SKIP_2) | instid1(VALU_DEP_2)
	v_add_f16_e64 v146, v155, v146
	v_fma_f16 v155, 0x31e1, v3, v163
	v_fmac_f16_e64 v163, 0xb1e1, v3
	v_add_f16_e64 v144, v155, v144
	v_fma_f16 v155, 0xb836, v2, v169
	v_fmac_f16_e64 v169, 0x3836, v2
	s_delay_alu instid0(VALU_DEP_2) | instskip(SKIP_2) | instid1(VALU_DEP_2)
	v_add_f16_e64 v144, v155, v144
	v_fma_f16 v155, 0xbbb2, v1, v167
	v_fmac_f16_e64 v167, 0x3bb2, v1
	v_add_f16_e64 v144, v155, v144
	v_fma_f16 v155, 0x39e9, v12, v156
	s_delay_alu instid0(VALU_DEP_1) | instskip(NEXT) | instid1(VALU_DEP_1)
	v_add_f16_e64 v155, v188, v155
	v_add_f16_e64 v158, v158, v155
	v_mul_f16_e64 v155, 0xb836, v252
	s_delay_alu instid0(VALU_DEP_1) | instskip(SKIP_1) | instid1(VALU_DEP_2)
	v_fma_f16 v159, 0xbacd, v17, v155
	v_fma_f16 v8, v17, 0xbacd, -v155
	v_add_f16_e64 v19, v159, v146
	v_mul_f16_e64 v159, 0x3722, v221
	s_delay_alu instid0(VALU_DEP_1) | instskip(SKIP_1) | instid1(VALU_DEP_2)
	v_fma_f16 v146, 0xbb29, v0, v159
	v_fmac_f16_e64 v159, 0x3b29, v0
	v_add_f16_e64 v175, v146, v144
	v_fma_f16 v144, 0xb8d2, v9, v185
	s_delay_alu instid0(VALU_DEP_1) | instskip(SKIP_1) | instid1(VALU_DEP_1)
	v_add_f16_e64 v146, v144, v158
	v_mul_f16_e64 v144, 0xb1e1, v217
	v_fma_f16 v158, 0xbbdd, v7, v144
	s_delay_alu instid0(VALU_DEP_1) | instskip(SKIP_1) | instid1(VALU_DEP_1)
	v_add_f16_e64 v158, v158, v146
	v_mul_f16_e64 v146, 0x3836, v147
	v_fma_f16 v165, 0xbacd, v6, v146
	s_delay_alu instid0(VALU_DEP_1) | instskip(SKIP_1) | instid1(VALU_DEP_1)
	v_add_f16_e64 v158, v165, v158
	v_mul_f16_e64 v165, 0x39e9, v152
	v_fma_f16 v152, 0x3964, v5, v165
	v_fmac_f16_e64 v165, 0xb964, v5
	v_fma_f16 v5, v12, 0x39e9, -v156
	s_delay_alu instid0(VALU_DEP_3) | instskip(SKIP_1) | instid1(VALU_DEP_3)
	v_add_f16_e64 v135, v152, v135
	v_mul_f16_e64 v152, 0x3bb2, v219
	v_add_f16_e64 v5, v188, v5
	s_delay_alu instid0(VALU_DEP_2) | instskip(NEXT) | instid1(VALU_DEP_1)
	v_fma_f16 v171, 0xb461, v13, v152
	v_add_f16_e64 v177, v171, v158
	v_mul_f16_e64 v171, 0x3722, v153
	v_mul_f16_e64 v158, 0x3b29, v229
	s_delay_alu instid0(VALU_DEP_2) | instskip(SKIP_1) | instid1(VALU_DEP_2)
	v_fma_f16 v153, 0x3b29, v4, v171
	v_fmac_f16_e64 v171, 0xbb29, v4
	v_add_f16_e64 v179, v153, v135
	v_mul_f16_e64 v153, 0x3b76, v198
	s_delay_alu instid0(VALU_DEP_2) | instskip(NEXT) | instid1(VALU_DEP_2)
	v_add_f16_e64 v41, v41, v179
	v_fma_f16 v135, 0xb5c8, v14, v153
	v_fmac_f16_e64 v153, 0x35c8, v14
	s_delay_alu instid0(VALU_DEP_3) | instskip(SKIP_4) | instid1(VALU_DEP_4)
	v_add_f16_e32 v41, v45, v41
	v_add_f16_e32 v45, v34, v36
	v_mul_f16_e64 v36, 0x35c8, v252
	v_add_f16_e64 v135, v135, v175
	v_fma_f16 v175, 0x3722, v15, v158
	v_add_f16_e32 v40, v113, v45
	v_add_f16_e32 v45, v120, v37
	v_mul_f16_e64 v37, 0xb8d2, v224
	s_delay_alu instid0(VALU_DEP_4)
	v_add_f16_e64 v175, v175, v177
	v_fmamk_f16 v34, v17, 0x3b76, v36
	v_add_f16_e32 v112, v112, v40
	v_add_f16_e32 v45, v119, v45
	v_fmamk_f16 v113, v1, 0x3a62, v37
	v_mul_f16_e64 v40, 0xbacd, v221
	v_fmac_f16_e32 v37, 0xba62, v1
	v_add_f16_e32 v112, v110, v112
	v_add_f16_e32 v45, v115, v45
	;; [unrolled: 1-line block ×3, first 2 shown]
	v_fmamk_f16 v113, v0, 0x3836, v40
	v_mul_f16_e64 v110, 0xb5c8, v220
	v_add_f16_e32 v108, v108, v112
	v_add_f16_e32 v111, v111, v45
	v_mul_f16_e64 v45, 0xbb29, v218
	v_add_f16_e32 v113, v113, v41
	v_mul_f16_e64 v41, 0xb964, v222
	v_add_f16_e32 v108, v92, v108
	v_add_f16_e32 v101, v101, v111
	v_fmamk_f16 v115, v12, 0x3b76, v110
	v_fmamk_f16 v112, v9, 0x3722, v45
	;; [unrolled: 1-line block ×3, first 2 shown]
	v_add_f16_e32 v108, v35, v108
	v_add_f16_e32 v87, v87, v101
	v_add_f16_e64 v115, v188, v115
	v_mul_f16_e64 v92, 0xbbf7, v217
	v_mul_f16_e64 v35, 0xbbb2, v147
	v_add_f16_e32 v108, v33, v108
	v_add_f16_e64 v33, v216, v96
	v_add_f16_e32 v82, v82, v87
	v_add_f16_e32 v115, v119, v115
	v_fmamk_f16 v111, v7, 0x2de8, v92
	v_add_f16_e32 v31, v31, v108
	v_add_f16_e32 v87, v98, v33
	;; [unrolled: 1-line block ×4, first 2 shown]
	v_fmamk_f16 v101, v6, 0xb461, v35
	v_add_f16_e32 v31, v27, v31
	v_add_f16_e32 v82, v94, v87
	;; [unrolled: 1-line block ×4, first 2 shown]
	v_mul_f16_e64 v33, 0xba62, v219
	v_add_f16_e32 v31, v24, v31
	v_add_f16_e32 v80, v89, v82
	v_add_f16_e32 v87, v28, v29
	v_add_f16_e32 v101, v101, v111
	v_fmamk_f16 v96, v13, 0xb8d2, v33
	v_add_f16_e32 v31, v22, v31
	v_add_f16_e32 v80, v85, v80
	;; [unrolled: 1-line block ×3, first 2 shown]
	v_mul_f16_e64 v27, 0xb836, v229
	v_add_f16_e32 v96, v96, v101
	v_add_f16_e32 v20, v20, v31
	v_fma_f16 v31, v12, 0xbbdd, -v77
	v_fma_f16 v77, v10, 0x3b76, -v79
	v_add_f16_e32 v80, v84, v80
	v_add_f16_e32 v25, v25, v26
	v_fmamk_f16 v82, v15, 0xbacd, v27
	v_add_f16_e64 v31, v188, v31
	v_mul_f16_e64 v22, 0xb1e1, v252
	v_add_f16_e32 v26, v78, v80
	v_fma_f16 v78, v10, 0x3722, -v116
	v_add_f16_e32 v82, v82, v96
	v_add_f16_e32 v31, v77, v31
	v_add_f16_e64 v77, v216, v86
	v_fmamk_f16 v28, v17, 0xbbdd, v22
	v_fma_f16 v84, v10, 0xb8d2, -v183
	v_fma_f16 v85, v7, 0xb461, -v142
	v_add_f16_e32 v31, v46, v31
	v_add_f16_e32 v77, v88, v77
	v_add_f16_e32 v28, v28, v82
	v_fma_f16 v82, v12, 0x3722, -v182
	v_fma_f16 v79, v10, 0xbacd, -v195
	v_add_f16_e32 v31, v43, v31
	v_add_f16_e32 v46, v99, v77
	v_fma_f16 v77, v12, 0xbacd, -v114
	v_add_f16_e64 v82, v188, v82
	v_fma_f16 v80, v9, 0x39e9, -v123
	v_add_f16_e32 v31, v42, v31
	v_add_f16_e32 v43, v90, v46
	v_add_f16_e64 v77, v188, v77
	v_fma_f16 v46, v9, 0x2de8, -v118
	v_add_f16_e32 v82, v84, v82
	v_fma_f16 v84, v9, 0xbbdd, -v133
	v_add_f16_e32 v42, v103, v43
	v_add_f16_e32 v77, v78, v77
	v_fma_f16 v43, v7, 0xb8d2, -v125
	v_fma_f16 v78, v7, 0xbacd, -v143
	v_add_f16_e32 v82, v84, v82
	v_add_f16_e64 v84, v216, v160
	v_add_f16_e32 v46, v46, v77
	v_fma_f16 v77, v10, 0xb461, -v122
	v_fmac_f16_e32 v40, 0xb836, v0
	v_add_f16_e32 v82, v85, v82
	v_add_f16_e64 v84, v162, v84
	v_add_f16_e32 v43, v43, v46
	v_fma_f16 v46, v13, 0x3722, -v47
	v_fma_f16 v47, v12, 0xb8d2, -v121
	;; [unrolled: 1-line block ×3, first 2 shown]
	v_add_f16_e64 v84, v161, v84
	v_mul_f16_e64 v29, 0xbbdd, v198
	v_add_f16_e32 v31, v46, v31
	v_add_f16_e64 v47, v188, v47
	v_add_f16_e32 v82, v85, v82
	v_add_f16_e64 v84, v163, v84
	v_fma_f16 v85, v13, 0x3b76, -v150
	v_fma_f16 v46, v6, 0x3b76, -v124
	v_add_f16_e32 v47, v77, v47
	v_fma_f16 v77, v9, 0x3b76, -v126
	v_add_f16_e64 v84, v169, v84
	v_add_f16_e32 v82, v85, v82
	v_fma_f16 v85, v15, 0x2de8, -v157
	v_add_f16_e32 v43, v46, v43
	v_add_f16_e32 v47, v77, v47
	v_add_f16_e64 v84, v167, v84
	v_fma_f16 v46, v15, 0xb461, -v81
	v_add_f16_e32 v82, v85, v82
	v_fma_f16 v81, v10, 0xbbdd, -v255
	v_add_f16_e32 v47, v78, v47
	v_fma_f16 v78, v6, 0x2de8, -v136
	v_fma_f16 v85, v10, 0x2de8, -v180
	v_add_f16_e32 v8, v8, v82
	v_add_f16_e64 v82, v159, v84
	v_add_f16_e64 v84, v216, v173
	v_add_f16_e32 v47, v78, v47
	v_fma_f16 v78, v13, 0x39e9, -v192
	v_add_f16_e32 v5, v85, v5
	v_fma_f16 v10, v10, 0x39e9, -v41
	v_add_f16_e64 v84, v165, v84
	v_add_f16_e32 v31, v46, v31
	v_add_f16_e32 v47, v78, v47
	v_fma_f16 v78, v15, 0xbbdd, -v199
	v_fma_f16 v46, v13, 0xbbdd, -v140
	v_fmamk_f16 v24, v14, 0x31e1, v29
	v_add_f16_e64 v34, v34, v175
	v_mov_b32_e32 v177, v201
	v_add_f16_e32 v47, v78, v47
	v_fma_f16 v78, v17, 0x3722, -v248
	v_add_f16_e32 v43, v46, v43
	v_fma_f16 v46, v17, 0x2de8, -v104
	v_add_f16_e32 v24, v24, v113
	v_mov_b32_e32 v201, v205
	v_add_f16_e32 v47, v78, v47
	v_fma_f16 v78, v12, 0xb461, -v149
	v_add_f16_e32 v31, v46, v31
	v_fma_f16 v46, v15, 0x39e9, -v151
	v_mov_b32_e32 v205, v209
	v_mov_b32_e32 v209, v212
	v_add_f16_e64 v78, v188, v78
	v_dual_mov_b32 v212, v215 :: v_dual_mov_b32 v215, v76
	v_mov_b32_e32 v76, v164
	v_mov_b32_e32 v164, v190
	s_delay_alu instid0(VALU_DEP_4)
	v_add_f16_e32 v78, v79, v78
	v_fmac_f16_e32 v29, 0xb1e1, v14
	v_pack_b32_f16 v14, v32, v30
	v_add_f16_e32 v43, v46, v43
	v_fma_f16 v46, v17, 0xb461, -v223
	v_add_f16_e32 v78, v80, v78
	v_fma_f16 v80, v12, 0x2de8, -v254
	v_fma_f16 v12, v12, 0x3b76, -v110
	v_add_f16_e64 v77, v216, v225
	v_add_f16_e32 v43, v46, v43
	v_add_f16_e64 v46, v216, v105
	v_add_f16_e64 v80, v188, v80
	;; [unrolled: 1-line block ×3, first 2 shown]
	v_fma_f16 v12, v9, 0xb8d2, -v185
	v_mov_b32_e32 v185, v16
	v_add_f16_e64 v79, v216, v230
	v_add_f16_e32 v80, v81, v80
	v_fma_f16 v81, v7, 0x3722, -v132
	v_add_f16_e32 v5, v12, v5
	v_add_f16_e64 v12, v171, v84
	v_add_f16_e32 v3, v10, v4
	v_fma_f16 v4, v9, 0x3722, -v45
	v_add_f16_e32 v78, v81, v78
	v_fma_f16 v81, v9, 0xb461, -v178
	v_fma_f16 v9, v7, 0xbbdd, -v144
	v_pack_b32_f16 v10, v34, v135
	v_add_f16_e32 v2, v4, v3
	v_fma_f16 v3, v7, 0x2de8, -v92
	v_fma_f16 v4, v6, 0xbacd, -v146
	v_add_f16_e32 v5, v9, v5
	v_add_f16_e32 v9, v38, v12
	v_add_f16_e32 v80, v81, v80
	v_add_f16_e32 v1, v3, v2
	v_fma_f16 v2, v6, 0xb461, -v35
	v_add_f16_e32 v4, v4, v5
	v_add_f16_e32 v5, v39, v9
	v_fma_f16 v3, v13, 0xb461, -v152
	v_fma_f16 v81, v6, 0xbbdd, -v129
	v_add_f16_e32 v0, v2, v1
	v_fma_f16 v2, v15, 0x3722, -v158
	v_fma_f16 v1, v13, 0xb8d2, -v33
	v_add_f16_e32 v3, v3, v4
	v_add_f16_e32 v4, v37, v5
	;; [unrolled: 1-line block ×3, first 2 shown]
	v_fma_f16 v81, v7, 0x3b76, -v131
	v_add_f16_e32 v0, v1, v0
	v_add_f16_e32 v2, v2, v3
	;; [unrolled: 1-line block ×3, first 2 shown]
	v_fma_f16 v4, v17, 0x3b76, -v36
	v_add_f16_e32 v80, v81, v80
	v_fma_f16 v81, v13, 0x2de8, -v145
	v_fma_f16 v1, v15, 0xbacd, -v27
	v_pack_b32_f16 v7, v28, v24
	v_add_f16_e32 v2, v4, v2
	v_lshl_add_u32 v4, v203, 2, v11
	s_clause 0x1
	scratch_load_b32 v11, off, off offset:256 th:TH_LOAD_LU
	scratch_load_b32 v16, off, off offset:260 th:TH_LOAD_LU
	v_add_f16_e32 v78, v81, v78
	v_fma_f16 v81, v6, 0x3722, -v128
	v_dual_mov_b32 v190, v232 :: v_dual_add_nc_u32 v9, 0x400, v4
	v_pack_b32_f16 v6, v20, v25
	v_add_f16_e32 v0, v1, v0
	s_delay_alu instid0(VALU_DEP_4)
	v_add_f16_e32 v80, v81, v80
	v_fma_f16 v81, v15, 0x3b76, -v197
	v_fma_f16 v1, v17, 0xbbdd, -v22
	v_pack_b32_f16 v12, v19, v117
	v_mov_b32_e32 v203, v207
	v_mov_b32_e32 v207, v210
	v_add_f16_e32 v78, v81, v78
	v_fma_f16 v81, v13, 0xbacd, -v141
	v_pack_b32_f16 v13, v83, v44
	v_mov_b32_e32 v210, v170
	v_mov_b32_e32 v170, v172
	;; [unrolled: 1-line block ×3, first 2 shown]
	v_add_f16_e32 v80, v81, v80
	v_fma_f16 v81, v17, 0xb8d2, -v247
	v_dual_mov_b32 v213, v18 :: v_dual_add_nc_u32 v18, 0x800, v4
	v_add_f16_e32 v0, v1, v0
	v_add_f16_e32 v46, v91, v46
	s_delay_alu instid0(VALU_DEP_4)
	v_add_f16_e32 v78, v81, v78
	v_fma_f16 v81, v15, 0xb8d2, -v148
	v_pack_b32_f16 v15, v23, v21
	v_add_f16_e64 v77, v226, v77
	v_add_f16_e64 v79, v231, v79
	v_add_f16_e32 v46, v93, v46
	v_add_f16_e32 v80, v81, v80
	v_fma_f16 v81, v17, 0x39e9, -v154
	v_add_f16_e64 v77, v228, v77
	v_add_f16_e64 v79, v238, v79
	v_add_f16_e32 v46, v95, v46
	v_add_f16_e32 v42, v102, v42
	;; [unrolled: 1-line block ×3, first 2 shown]
	v_add_f16_e64 v81, v216, v249
	v_add_f16_e64 v77, v233, v77
	;; [unrolled: 1-line block ×3, first 2 shown]
	v_add_f16_e32 v46, v100, v46
	v_add_f16_e32 v42, v107, v42
	v_add_f16_e64 v81, v234, v81
	v_add_f16_e64 v77, v240, v77
	;; [unrolled: 1-line block ×3, first 2 shown]
	v_add_f16_e32 v46, v97, v46
	v_add_f16_e32 v26, v109, v26
	v_add_f16_e64 v81, v235, v81
	v_add_f16_e64 v77, v237, v77
	;; [unrolled: 1-line block ×3, first 2 shown]
	v_add_f16_e32 v46, v106, v46
	v_add_f16_e64 v42, v138, v42
	v_add_f16_e64 v81, v236, v81
	v_add_f16_e64 v77, v227, v77
	v_add_f16_e64 v79, v251, v79
	v_add_f16_e64 v46, v134, v46
	v_add_f16_e64 v5, v153, v82
	v_add_f16_e64 v81, v244, v81
	v_add_f16_e64 v77, v253, v77
	v_add_f16_e64 v79, v139, v79
	v_add_f16_e32 v3, v29, v3
	v_mov_b32_e32 v179, v184
	v_add_f16_e64 v81, v242, v81
	v_dual_mov_b32 v184, v189 :: v_dual_mov_b32 v189, v193
	v_mov_b32_e32 v175, v166
	v_mov_b32_e32 v193, v196
	s_delay_alu instid0(VALU_DEP_4)
	v_add_f16_e64 v81, v250, v81
	v_mov_b32_e32 v196, v202
	v_mov_b32_e32 v202, v206
	;; [unrolled: 1-line block ×4, first 2 shown]
	v_add_f16_e32 v81, v127, v81
	v_mov_b32_e32 v174, v176
	v_mov_b32_e32 v176, v186
	;; [unrolled: 1-line block ×3, first 2 shown]
	v_pack_b32_f16 v2, v2, v5
	v_pack_b32_f16 v8, v8, v81
	;; [unrolled: 1-line block ×3, first 2 shown]
	s_wait_loadcnt 0x0
	v_pack_b32_f16 v17, v16, v11
	ds_store_2addr_b32 v9, v6, v7 offset0:220 offset1:227
	ds_store_2addr_b32 v9, v10, v12 offset0:234 offset1:241
	;; [unrolled: 1-line block ×4, first 2 shown]
	s_clause 0x1
	scratch_load_b32 v1, off, off offset:248 th:TH_LOAD_LU
	scratch_load_b32 v6, off, off offset:252 th:TH_LOAD_LU
	v_pack_b32_f16 v7, v43, v42
	v_pack_b32_f16 v9, v47, v46
	;; [unrolled: 1-line block ×4, first 2 shown]
	s_wait_loadcnt 0x0
	v_pack_b32_f16 v1, v6, v1
	v_pack_b32_f16 v6, v31, v26
	ds_store_2addr_b32 v18, v1, v6 offset0:20 offset1:27
	ds_store_2addr_b32 v18, v7, v9 offset0:34 offset1:41
	;; [unrolled: 1-line block ×4, first 2 shown]
	ds_store_b32 v4, v0 offset:2352
.LBB0_9:
	s_wait_alu 0xfffe
	s_or_b32 exec_lo, exec_lo, s0
	v_add_nc_u32_e32 v13, 0x400, v130
	global_wb scope:SCOPE_SE
	s_wait_storecnt_dscnt 0x0
	s_barrier_signal -1
	s_barrier_wait -1
	global_inv scope:SCOPE_SE
	ds_load_2addr_b32 v[6:7], v130 offset1:17
	ds_load_2addr_b32 v[0:1], v130 offset0:102 offset1:119
	ds_load_2addr_b32 v[18:19], v130 offset0:238 offset1:255
	ds_load_2addr_b32 v[21:22], v13 offset0:84 offset1:101
	ds_load_2addr_b32 v[23:24], v13 offset0:220 offset1:237
	ds_load_2addr_b32 v[25:26], v130 offset0:136 offset1:153
	ds_load_2addr_b32 v[27:28], v13 offset0:118 offset1:135
	ds_load_2addr_b32 v[4:5], v130 offset0:34 offset1:51
	v_add_nc_u32_e32 v8, 0x600, v130
	ds_load_2addr_b32 v[29:30], v130 offset0:170 offset1:187
	ds_load_2addr_b32 v[2:3], v130 offset0:68 offset1:85
	;; [unrolled: 1-line block ×6, first 2 shown]
	v_add_nc_u32_e32 v14, 0x800, v130
	ds_load_2addr_b32 v[38:39], v13 offset0:50 offset1:67
	ds_load_2addr_b32 v[80:81], v13 offset0:186 offset1:203
	ds_load_b32 v86, v130 offset:2312
	s_mov_b32 s8, 0x1b89401c
	ds_load_2addr_b32 v[42:43], v14 offset0:32 offset1:49
	s_wait_dscnt 0x10
	v_lshrrev_b32_e32 v20, 16, v1
	s_wait_dscnt 0xf
	v_lshrrev_b32_e32 v37, 16, v18
	v_mul_f16_e64 v100, v207, v1
	s_wait_dscnt 0xd
	v_lshrrev_b32_e32 v41, 16, v23
	v_lshrrev_b32_e32 v47, 16, v19
	v_mul_f16_e64 v99, v207, v20
	v_mul_f16_e64 v104, v204, v37
	s_wait_dscnt 0xb
	v_lshrrev_b32_e32 v77, 16, v27
	v_lshrrev_b32_e32 v40, 16, v22
	;; [unrolled: 1-line block ×3, first 2 shown]
	v_fmac_f16_e32 v99, v52, v1
	v_mul_f16_e64 v1, v204, v18
	v_fmac_f16_e32 v104, v53, v18
	v_fma_f16 v100, v52, v20, -v100
	v_mul_f16_e64 v20, v206, v22
	v_mul_f16_e64 v109, v201, v47
	v_fma_f16 v53, v53, v37, -v1
	v_mul_f16_e64 v1, v203, v23
	v_lshrrev_b32_e32 v46, 16, v25
	v_lshrrev_b32_e32 v83, 16, v28
	s_wait_dscnt 0x6
	v_lshrrev_b32_e32 v84, 16, v33
	v_fma_f16 v107, v54, v40, -v20
	v_fma_f16 v110, v55, v41, -v1
	v_mul_f16_e64 v1, v202, v27
	v_mul_f16_e64 v18, v205, v25
	;; [unrolled: 1-line block ×3, first 2 shown]
	v_fmac_f16_e32 v109, v49, v19
	v_mul_f16_e64 v19, v210, v28
	v_fma_f16 v115, v50, v77, -v1
	v_mul_f16_e64 v1, v170, v26
	v_lshrrev_b32_e32 v78, 16, v24
	v_lshrrev_b32_e32 v87, 16, v32
	;; [unrolled: 1-line block ×3, first 2 shown]
	v_fma_f16 v111, v48, v46, -v18
	v_fma_f16 v119, v60, v79, -v1
	v_mul_f16_e64 v1, v172, v33
	v_mul_f16_e64 v18, v185, v24
	;; [unrolled: 1-line block ×3, first 2 shown]
	v_fma_f16 v83, v62, v83, -v19
	v_mul_f16_e64 v120, v172, v84
	v_fma_f16 v84, v63, v84, -v1
	v_mul_f16_e64 v1, v208, v32
	v_mul_f16_e64 v19, v209, v34
	v_lshrrev_b32_e32 v82, 16, v31
	v_lshrrev_b32_e32 v90, 16, v30
	s_wait_dscnt 0x4
	v_lshrrev_b32_e32 v94, 16, v44
	v_mul_f16_e64 v108, v205, v46
	v_mul_f16_e64 v113, v202, v77
	;; [unrolled: 1-line block ×3, first 2 shown]
	v_fma_f16 v116, v51, v78, -v18
	v_mul_f16_e64 v18, v212, v31
	v_mul_f16_e64 v77, v208, v87
	v_fma_f16 v78, v57, v87, -v1
	v_fma_f16 v87, v59, v89, -v19
	v_mul_f16_e64 v1, v174, v30
	v_lshrrev_b32_e32 v19, 16, v64
	v_lshrrev_b32_e32 v85, 16, v29
	;; [unrolled: 1-line block ×4, first 2 shown]
	v_mul_f16_e64 v105, v206, v40
	v_fma_f16 v112, v49, v47, -v20
	v_mul_f16_e64 v117, v212, v82
	v_fma_f16 v82, v61, v82, -v18
	v_mul_f16_e64 v18, v213, v29
	v_fma_f16 v47, v68, v90, -v1
	v_mul_f16_e64 v1, v168, v36
	v_mul_f16_e32 v40, v19, v94
	v_mul_f16_e32 v19, v19, v44
	s_wait_dscnt 0x3
	v_lshrrev_b32_e32 v95, 16, v39
	v_lshrrev_b32_e32 v101, 16, v21
	v_fmac_f16_e32 v117, v61, v31
	v_fmac_f16_e32 v118, v62, v28
	v_mul_f16_e64 v121, v213, v85
	v_fma_f16 v62, v56, v85, -v18
	v_mul_f16_e64 v85, v211, v88
	v_mul_f16_e64 v18, v211, v35
	v_fma_f16 v52, v70, v92, -v1
	v_fma_f16 v31, v64, v94, -v19
	v_mul_f16_e32 v1, v76, v39
	v_lshrrev_b32_e32 v19, 16, v73
	v_lshrrev_b32_e32 v91, 16, v38
	s_wait_dscnt 0x0
	v_lshrrev_b32_e32 v93, 16, v42
	v_lshrrev_b32_e32 v97, 16, v43
	v_mul_f16_e64 v106, v203, v41
	v_fmac_f16_e32 v105, v54, v22
	v_mul_f16_e64 v114, v170, v79
	v_fmac_f16_e32 v85, v58, v35
	v_fma_f16 v79, v58, v88, -v18
	v_mul_f16_e64 v18, v214, v38
	v_fma_f16 v35, v65, v95, -v1
	v_mul_f16_e64 v1, v215, v43
	v_mul_f16_e32 v20, v19, v101
	v_lshrrev_b32_e32 v102, 16, v81
	v_fmac_f16_e32 v106, v55, v23
	v_fmac_f16_e32 v108, v48, v25
	;; [unrolled: 1-line block ×3, first 2 shown]
	v_mul_f16_e64 v55, v174, v90
	v_fma_f16 v48, v69, v91, -v18
	v_mul_f16_e64 v58, v176, v93
	v_mul_f16_e64 v18, v176, v42
	v_mul_f16_e32 v19, v19, v21
	v_fma_f16 v41, v67, v97, -v1
	v_fmac_f16_e32 v20, v73, v21
	v_add_f16_e32 v1, v104, v105
	v_lshrrev_b32_e32 v21, 16, v74
	v_add_f16_e32 v24, v6, v99
	v_lshrrev_b32_e32 v96, 16, v80
	v_lshrrev_b32_e32 v103, 16, v86
	v_fmac_f16_e32 v113, v50, v27
	v_fmac_f16_e32 v120, v63, v33
	;; [unrolled: 1-line block ×3, first 2 shown]
	v_mul_f16_e64 v50, v168, v92
	v_fmac_f16_e32 v55, v68, v30
	v_fmac_f16_e32 v58, v71, v42
	v_fma_f16 v54, v71, v93, -v18
	v_mul_f16_e64 v18, v190, v80
	v_mul_f16_e64 v42, v215, v97
	v_mul_f16_e32 v25, v21, v102
	v_mul_f16_e32 v21, v21, v81
	v_lshrrev_b32_e32 v33, 16, v75
	v_fma_f16 v1, -0.5, v1, v6
	v_sub_f16_e32 v30, v100, v110
	v_add_f16_e32 v24, v24, v104
	v_add_f16_e32 v32, v99, v106
	v_lshrrev_b32_e32 v17, 16, v6
	v_lshrrev_b32_e32 v98, 16, v45
	v_fmac_f16_e32 v114, v60, v26
	v_fmac_f16_e32 v121, v56, v29
	v_mul_f16_e64 v122, v209, v89
	v_fmac_f16_e32 v50, v70, v36
	v_mul_f16_e32 v36, v76, v95
	v_fma_f16 v37, v66, v96, -v18
	v_fmac_f16_e32 v42, v67, v43
	v_lshrrev_b32_e32 v18, 16, v72
	v_mul_f16_e32 v29, v33, v103
	v_fma_f16 v23, v74, v102, -v21
	v_fmamk_f16 v21, v30, 0xbb9c, v1
	v_sub_f16_e32 v28, v53, v107
	v_sub_f16_e32 v26, v99, v104
	;; [unrolled: 1-line block ×3, first 2 shown]
	v_mul_f16_e32 v33, v33, v86
	v_add_f16_e32 v24, v24, v105
	v_fma_f16 v6, -0.5, v32, v6
	v_fmac_f16_e32 v1, 0x3b9c, v30
	v_add_f16_e32 v43, v53, v107
	v_fmac_f16_e32 v122, v59, v34
	v_fmac_f16_e32 v36, v65, v39
	v_mul_f16_e32 v22, v18, v98
	v_fmac_f16_e32 v21, 0xb8b4, v28
	v_add_f16_e32 v34, v26, v27
	v_fma_f16 v27, v75, v103, -v33
	v_add_f16_e32 v26, v24, v106
	v_fmamk_f16 v24, v28, 0x3b9c, v6
	v_sub_f16_e32 v32, v104, v99
	v_sub_f16_e32 v33, v105, v106
	v_fmac_f16_e32 v1, 0x38b4, v28
	v_add_f16_e32 v39, v17, v100
	v_fmac_f16_e32 v6, 0xbb9c, v28
	v_fma_f16 v28, -0.5, v43, v17
	v_sub_f16_e32 v43, v99, v106
	v_fmac_f16_e32 v40, v64, v44
	v_mul_f16_e32 v18, v18, v45
	v_fmac_f16_e32 v22, v72, v45
	v_fmac_f16_e32 v21, 0x34f2, v34
	;; [unrolled: 1-line block ×3, first 2 shown]
	v_add_f16_e32 v32, v32, v33
	v_add_f16_e32 v33, v39, v53
	v_fmac_f16_e32 v1, 0x34f2, v34
	v_fmac_f16_e32 v6, 0x38b4, v30
	v_fmamk_f16 v30, v43, 0x3b9c, v28
	v_add_f16_e32 v34, v100, v110
	v_sub_f16_e32 v39, v104, v105
	v_sub_f16_e32 v44, v100, v53
	v_sub_f16_e32 v45, v110, v107
	v_fmac_f16_e32 v28, 0xbb9c, v43
	v_fmac_f16_e32 v17, -0.5, v34
	v_fmac_f16_e32 v30, 0x38b4, v39
	v_sub_f16_e32 v34, v53, v100
	v_add_f16_e32 v44, v44, v45
	v_sub_f16_e32 v45, v107, v110
	v_add_f16_e32 v51, v109, v113
	v_fmac_f16_e32 v28, 0xb8b4, v39
	v_add_f16_e32 v53, v7, v108
	v_lshrrev_b32_e32 v12, 16, v7
	v_fmac_f16_e32 v24, 0x34f2, v32
	v_fmac_f16_e32 v6, 0x34f2, v32
	v_fmamk_f16 v32, v39, 0xbb9c, v17
	v_fmac_f16_e32 v30, 0x34f2, v44
	v_add_f16_e32 v45, v34, v45
	v_fma_f16 v34, -0.5, v51, v7
	v_sub_f16_e32 v51, v111, v116
	v_fmac_f16_e32 v28, 0x34f2, v44
	v_fmac_f16_e32 v17, 0x3b9c, v39
	v_add_f16_e32 v44, v53, v109
	v_add_f16_e32 v59, v108, v46
	v_fmac_f16_e32 v32, 0x38b4, v43
	v_fmamk_f16 v39, v51, 0xbb9c, v34
	v_sub_f16_e32 v53, v112, v115
	v_sub_f16_e32 v56, v108, v109
	;; [unrolled: 1-line block ×3, first 2 shown]
	v_fmac_f16_e32 v17, 0xb8b4, v43
	v_add_f16_e32 v43, v44, v113
	v_fmac_f16_e32 v7, -0.5, v59
	v_fmac_f16_e32 v34, 0x3b9c, v51
	v_add_f16_e32 v59, v12, v111
	v_fmac_f16_e32 v32, 0x34f2, v45
	v_fmac_f16_e32 v39, 0xb8b4, v53
	v_add_f16_e32 v56, v56, v57
	v_fmac_f16_e32 v17, 0x34f2, v45
	v_add_f16_e32 v44, v43, v46
	v_fmamk_f16 v43, v53, 0x3b9c, v7
	v_sub_f16_e32 v45, v109, v108
	v_sub_f16_e32 v57, v113, v46
	v_fmac_f16_e32 v34, 0x38b4, v53
	v_add_f16_e32 v60, v112, v115
	v_fmac_f16_e32 v7, 0xbb9c, v53
	v_add_f16_e32 v53, v59, v112
	v_fmac_f16_e32 v39, 0x34f2, v56
	v_fmac_f16_e32 v43, 0xb8b4, v51
	v_add_f16_e32 v57, v45, v57
	v_fma_f16 v45, -0.5, v60, v12
	v_sub_f16_e32 v59, v108, v46
	v_fmac_f16_e32 v34, 0x34f2, v56
	v_fmac_f16_e32 v7, 0x38b4, v51
	v_add_f16_e32 v51, v53, v115
	v_add_f16_e32 v53, v111, v116
	v_sub_f16_e32 v56, v111, v112
	v_sub_f16_e32 v61, v116, v115
	v_mul_f16_e64 v49, v214, v91
	v_fmac_f16_e32 v43, 0x34f2, v57
	v_fmamk_f16 v46, v59, 0x3b9c, v45
	v_sub_f16_e32 v60, v109, v113
	v_fmac_f16_e32 v7, 0x34f2, v57
	v_fmac_f16_e32 v12, -0.5, v53
	v_add_f16_e32 v57, v56, v61
	v_fmac_f16_e32 v45, 0xbb9c, v59
	v_sub_f16_e32 v56, v112, v111
	v_sub_f16_e32 v61, v115, v116
	v_add_f16_e32 v63, v117, v118
	v_fmac_f16_e32 v49, v69, v38
	v_mul_f16_e64 v38, v190, v96
	v_add_f16_e32 v53, v51, v116
	v_fmac_f16_e32 v46, 0x38b4, v60
	v_fmamk_f16 v51, v60, 0xbb9c, v12
	v_fmac_f16_e32 v45, 0xb8b4, v60
	v_add_f16_e32 v61, v56, v61
	v_add_f16_e32 v64, v4, v114
	v_fma_f16 v56, -0.5, v63, v4
	v_sub_f16_e32 v63, v119, v84
	v_fmac_f16_e32 v12, 0x3b9c, v60
	v_lshrrev_b32_e32 v16, 16, v4
	v_fmac_f16_e32 v38, v66, v80
	v_fmac_f16_e32 v46, 0x34f2, v57
	;; [unrolled: 1-line block ×4, first 2 shown]
	v_add_f16_e32 v60, v64, v117
	v_fmamk_f16 v57, v63, 0xbb9c, v56
	v_sub_f16_e32 v64, v82, v83
	v_sub_f16_e32 v65, v114, v117
	;; [unrolled: 1-line block ×3, first 2 shown]
	v_add_f16_e32 v67, v114, v120
	v_fmac_f16_e32 v12, 0xb8b4, v59
	v_fmac_f16_e32 v56, 0x3b9c, v63
	;; [unrolled: 1-line block ×4, first 2 shown]
	v_add_f16_e32 v65, v65, v66
	v_fma_f16 v4, -0.5, v67, v4
	v_fmac_f16_e32 v12, 0x34f2, v61
	v_sub_f16_e32 v61, v117, v114
	v_sub_f16_e32 v66, v118, v120
	v_fmac_f16_e32 v56, 0x38b4, v64
	v_add_f16_e32 v67, v16, v119
	v_add_f16_e32 v68, v82, v83
	;; [unrolled: 1-line block ×3, first 2 shown]
	v_fmac_f16_e32 v57, 0x34f2, v65
	v_fmamk_f16 v60, v64, 0x3b9c, v4
	v_add_f16_e32 v66, v61, v66
	v_fmac_f16_e32 v4, 0xbb9c, v64
	v_add_f16_e32 v64, v67, v82
	v_fma_f16 v61, -0.5, v68, v16
	v_sub_f16_e32 v67, v114, v120
	v_fmac_f16_e32 v56, 0x34f2, v65
	v_add_f16_e32 v65, v119, v84
	v_sub_f16_e32 v69, v119, v82
	v_sub_f16_e32 v70, v84, v83
	v_fmac_f16_e32 v60, 0xb8b4, v63
	v_fmac_f16_e32 v4, 0x38b4, v63
	v_fmamk_f16 v63, v67, 0x3b9c, v61
	v_sub_f16_e32 v68, v117, v118
	v_fmac_f16_e32 v16, -0.5, v65
	v_add_f16_e32 v65, v69, v70
	v_fmac_f16_e32 v61, 0xbb9c, v67
	v_sub_f16_e32 v69, v82, v119
	v_sub_f16_e32 v70, v83, v84
	v_add_f16_e32 v71, v77, v85
	v_lshrrev_b32_e32 v11, 16, v5
	v_fma_f16 v18, v72, v98, -v18
	v_fma_f16 v19, v73, v101, -v19
	v_fmac_f16_e32 v25, v74, v81
	v_fmac_f16_e32 v29, v75, v86
	;; [unrolled: 1-line block ×5, first 2 shown]
	v_fmamk_f16 v66, v68, 0xbb9c, v16
	v_fmac_f16_e32 v61, 0xb8b4, v68
	v_add_f16_e32 v69, v69, v70
	v_add_f16_e32 v70, v5, v121
	v_fma_f16 v71, -0.5, v71, v5
	v_sub_f16_e32 v72, v62, v87
	v_fmac_f16_e32 v16, 0x3b9c, v68
	v_sub_f16_e32 v73, v121, v77
	v_sub_f16_e32 v74, v122, v85
	v_add_f16_e32 v75, v121, v122
	v_fmac_f16_e32 v63, 0x34f2, v65
	v_fmac_f16_e32 v66, 0x38b4, v67
	;; [unrolled: 1-line block ×3, first 2 shown]
	v_add_f16_e32 v65, v70, v77
	v_fmamk_f16 v68, v72, 0xbb9c, v71
	v_sub_f16_e32 v70, v78, v79
	v_fmac_f16_e32 v16, 0xb8b4, v67
	v_add_f16_e32 v67, v73, v74
	v_fmac_f16_e32 v5, -0.5, v75
	v_fmac_f16_e32 v71, 0x3b9c, v72
	v_sub_f16_e32 v73, v77, v121
	v_sub_f16_e32 v74, v85, v122
	v_add_f16_e32 v75, v11, v62
	v_add_f16_e32 v80, v78, v79
	v_fmac_f16_e32 v66, 0x34f2, v69
	v_fmac_f16_e32 v68, 0xb8b4, v70
	;; [unrolled: 1-line block ×3, first 2 shown]
	v_fmamk_f16 v69, v70, 0x3b9c, v5
	v_fmac_f16_e32 v71, 0x38b4, v70
	v_add_f16_e32 v73, v73, v74
	v_fmac_f16_e32 v5, 0xbb9c, v70
	v_add_f16_e32 v70, v75, v78
	v_fma_f16 v74, -0.5, v80, v11
	v_sub_f16_e32 v75, v121, v122
	v_fmac_f16_e32 v68, 0x34f2, v67
	v_fmac_f16_e32 v69, 0xb8b4, v72
	;; [unrolled: 1-line block ×4, first 2 shown]
	v_add_f16_e32 v67, v70, v79
	v_fmamk_f16 v70, v75, 0x3b9c, v74
	v_add_f16_e32 v72, v62, v87
	v_sub_f16_e32 v77, v77, v85
	v_sub_f16_e32 v80, v62, v78
	;; [unrolled: 1-line block ×3, first 2 shown]
	v_fmac_f16_e32 v74, 0xbb9c, v75
	v_sub_f16_e32 v62, v78, v62
	v_sub_f16_e32 v78, v79, v87
	v_fmac_f16_e32 v11, -0.5, v72
	v_fmac_f16_e32 v70, 0x38b4, v77
	v_add_f16_e32 v72, v80, v81
	v_add_f16_e32 v79, v49, v50
	v_fmac_f16_e32 v74, 0xb8b4, v77
	v_add_f16_e32 v62, v62, v78
	v_add_f16_e32 v78, v2, v55
	v_lshrrev_b32_e32 v15, 16, v2
	v_add_f16_e32 v64, v64, v83
	v_fmac_f16_e32 v69, 0x34f2, v73
	v_fmac_f16_e32 v5, 0x34f2, v73
	v_fmamk_f16 v73, v77, 0xbb9c, v11
	v_fmac_f16_e32 v70, 0x34f2, v72
	v_fma_f16 v79, -0.5, v79, v2
	v_sub_f16_e32 v80, v47, v54
	v_fmac_f16_e32 v74, 0x34f2, v72
	v_fmac_f16_e32 v11, 0x3b9c, v77
	v_add_f16_e32 v72, v78, v49
	v_add_f16_e32 v83, v55, v58
	v_fmac_f16_e32 v73, 0x38b4, v75
	v_fmamk_f16 v77, v80, 0xbb9c, v79
	v_sub_f16_e32 v78, v48, v52
	v_sub_f16_e32 v81, v55, v49
	;; [unrolled: 1-line block ×3, first 2 shown]
	v_fmac_f16_e32 v11, 0xb8b4, v75
	v_add_f16_e32 v72, v72, v50
	v_fma_f16 v2, -0.5, v83, v2
	v_fmac_f16_e32 v79, 0x3b9c, v80
	v_add_f16_e32 v83, v15, v47
	v_add_f16_e32 v64, v64, v84
	v_fmac_f16_e32 v73, 0x34f2, v62
	v_fmac_f16_e32 v77, 0xb8b4, v78
	v_add_f16_e32 v75, v81, v82
	v_fmac_f16_e32 v11, 0x34f2, v62
	v_add_f16_e32 v62, v72, v58
	v_fmamk_f16 v72, v78, 0x3b9c, v2
	v_sub_f16_e32 v81, v49, v55
	v_sub_f16_e32 v82, v50, v58
	v_fmac_f16_e32 v79, 0x38b4, v78
	v_add_f16_e32 v84, v48, v52
	v_fmac_f16_e32 v2, 0xbb9c, v78
	v_add_f16_e32 v78, v83, v48
	v_add_f16_e32 v81, v81, v82
	v_sub_f16_e32 v55, v55, v58
	v_fma_f16 v82, -0.5, v84, v15
	v_sub_f16_e32 v49, v49, v50
	v_add_f16_e32 v58, v78, v52
	v_add_f16_e32 v78, v47, v54
	v_sub_f16_e32 v50, v47, v48
	v_sub_f16_e32 v47, v48, v47
	;; [unrolled: 1-line block ×3, first 2 shown]
	v_fmac_f16_e32 v77, 0x34f2, v75
	v_fmac_f16_e32 v72, 0xb8b4, v80
	;; [unrolled: 1-line block ×4, first 2 shown]
	v_fmamk_f16 v75, v55, 0x3b9c, v82
	v_sub_f16_e32 v80, v54, v52
	v_fmac_f16_e32 v15, -0.5, v78
	v_fmac_f16_e32 v82, 0xbb9c, v55
	v_add_f16_e32 v47, v47, v48
	v_add_f16_e32 v48, v3, v40
	v_fmac_f16_e32 v75, 0x38b4, v49
	v_add_f16_e32 v50, v50, v80
	v_fmamk_f16 v78, v49, 0xbb9c, v15
	v_add_f16_e32 v52, v36, v38
	v_fmac_f16_e32 v82, 0xb8b4, v49
	v_fmac_f16_e32 v15, 0x3b9c, v49
	v_add_f16_e32 v48, v48, v36
	v_add_f16_e32 v83, v40, v42
	v_lshrrev_b32_e32 v10, 16, v3
	v_fmac_f16_e32 v72, 0x34f2, v81
	v_fmac_f16_e32 v2, 0x34f2, v81
	v_add_f16_e32 v58, v58, v54
	v_fmac_f16_e32 v75, 0x34f2, v50
	v_fmac_f16_e32 v78, 0x38b4, v55
	v_fma_f16 v52, -0.5, v52, v3
	v_sub_f16_e32 v54, v31, v41
	v_fmac_f16_e32 v82, 0x34f2, v50
	v_sub_f16_e32 v50, v35, v37
	v_sub_f16_e32 v80, v40, v36
	;; [unrolled: 1-line block ×3, first 2 shown]
	v_fmac_f16_e32 v15, 0xb8b4, v55
	v_add_f16_e32 v48, v48, v38
	v_fmac_f16_e32 v3, -0.5, v83
	v_fmac_f16_e32 v78, 0x34f2, v47
	v_fmamk_f16 v49, v54, 0xbb9c, v52
	v_add_f16_e32 v55, v80, v81
	v_fmac_f16_e32 v15, 0x34f2, v47
	v_add_f16_e32 v47, v48, v42
	v_fmac_f16_e32 v52, 0x3b9c, v54
	v_fmamk_f16 v48, v50, 0x3b9c, v3
	v_sub_f16_e32 v80, v36, v40
	v_sub_f16_e32 v81, v38, v42
	v_add_f16_e32 v83, v10, v31
	v_add_f16_e32 v84, v35, v37
	v_fmac_f16_e32 v3, 0xbb9c, v50
	v_fmac_f16_e32 v49, 0xb8b4, v50
	;; [unrolled: 1-line block ×4, first 2 shown]
	v_add_f16_e32 v80, v80, v81
	v_add_f16_e32 v50, v83, v35
	v_fma_f16 v81, -0.5, v84, v10
	v_sub_f16_e32 v40, v40, v42
	v_fmac_f16_e32 v3, 0x38b4, v54
	v_add_f16_e32 v54, v31, v41
	v_fmac_f16_e32 v49, 0x34f2, v55
	v_fmac_f16_e32 v52, 0x34f2, v55
	v_add_f16_e32 v42, v50, v37
	v_fmamk_f16 v50, v40, 0x3b9c, v81
	v_sub_f16_e32 v36, v36, v38
	v_sub_f16_e32 v38, v31, v35
	;; [unrolled: 1-line block ×3, first 2 shown]
	v_fmac_f16_e32 v10, -0.5, v54
	v_fmac_f16_e32 v81, 0xbb9c, v40
	v_sub_f16_e32 v31, v35, v31
	v_sub_f16_e32 v35, v37, v41
	v_add_f16_e32 v37, v20, v25
	v_fmac_f16_e32 v50, 0x38b4, v36
	v_add_f16_e32 v38, v38, v55
	v_fmamk_f16 v54, v36, 0xbb9c, v10
	v_fmac_f16_e32 v81, 0xb8b4, v36
	v_fmac_f16_e32 v10, 0x3b9c, v36
	v_fma_f16 v36, -0.5, v37, v0
	v_sub_f16_e32 v37, v18, v27
	v_add_f16_e32 v42, v42, v41
	v_fmac_f16_e32 v50, 0x34f2, v38
	v_fmac_f16_e32 v54, 0x38b4, v40
	v_add_f16_e32 v31, v31, v35
	v_add_f16_e32 v35, v0, v22
	v_fmac_f16_e32 v81, 0x34f2, v38
	v_fmac_f16_e32 v10, 0xb8b4, v40
	v_fmamk_f16 v38, v37, 0xbb9c, v36
	v_sub_f16_e32 v40, v19, v23
	v_sub_f16_e32 v41, v22, v20
	v_sub_f16_e32 v55, v29, v25
	v_fmac_f16_e32 v36, 0x3b9c, v37
	v_lshrrev_b32_e32 v9, 16, v0
	v_fmac_f16_e32 v48, 0x34f2, v80
	v_fmac_f16_e32 v3, 0x34f2, v80
	v_add_f16_e32 v35, v35, v20
	v_add_f16_e32 v80, v22, v29
	v_fmac_f16_e32 v38, 0xb8b4, v40
	v_add_f16_e32 v41, v41, v55
	v_fmac_f16_e32 v36, 0x38b4, v40
	v_add_f16_e32 v35, v35, v25
	v_fmac_f16_e32 v0, -0.5, v80
	v_add_f16_e32 v55, v19, v23
	v_fmac_f16_e32 v38, 0x34f2, v41
	v_fmac_f16_e32 v36, 0x34f2, v41
	v_add_f16_e32 v41, v9, v18
	v_fmac_f16_e32 v54, 0x34f2, v31
	v_fmac_f16_e32 v10, 0x34f2, v31
	v_add_f16_e32 v31, v35, v29
	v_fmamk_f16 v35, v40, 0x3b9c, v0
	v_sub_f16_e32 v80, v20, v22
	v_sub_f16_e32 v83, v25, v29
	v_fmac_f16_e32 v0, 0xbb9c, v40
	v_add_f16_e32 v40, v41, v19
	v_fma_f16 v41, -0.5, v55, v9
	v_add_f16_e32 v55, v18, v27
	v_sub_f16_e32 v22, v22, v29
	v_fmac_f16_e32 v35, 0xb8b4, v37
	v_add_f16_e32 v29, v80, v83
	v_fmac_f16_e32 v0, 0x38b4, v37
	v_sub_f16_e32 v20, v20, v25
	v_fmac_f16_e32 v9, -0.5, v55
	v_add_f16_e32 v33, v33, v107
	v_fmac_f16_e32 v35, 0x34f2, v29
	v_fmac_f16_e32 v0, 0x34f2, v29
	v_sub_f16_e32 v29, v18, v19
	v_fmamk_f16 v55, v20, 0xbb9c, v9
	v_sub_f16_e32 v18, v19, v18
	v_sub_f16_e32 v19, v23, v27
	v_fmac_f16_e32 v9, 0x3b9c, v20
	v_add_f16_e32 v33, v33, v110
	v_fmac_f16_e32 v55, 0x38b4, v22
	v_add_f16_e32 v65, v65, v85
	v_add_f16_e32 v18, v18, v19
	v_fmac_f16_e32 v9, 0xb8b4, v22
	v_pack_b32_f16 v19, v26, v33
	v_pack_b32_f16 v6, v6, v17
	;; [unrolled: 1-line block ×3, first 2 shown]
	v_fmac_f16_e32 v55, 0x34f2, v18
	v_fmac_f16_e32 v9, 0x34f2, v18
	v_pack_b32_f16 v18, v21, v30
	ds_store_b32 v130, v19
	v_pack_b32_f16 v19, v24, v32
	v_add_f16_e32 v37, v40, v23
	v_fmamk_f16 v40, v22, 0x3b9c, v41
	v_fmac_f16_e32 v41, 0xbb9c, v22
	v_pack_b32_f16 v17, v44, v53
	v_add_nc_u32_e32 v22, 0x88, v130
	v_add_f16_e32 v59, v59, v120
	v_add_f16_e32 v65, v65, v122
	v_add_f16_e32 v67, v67, v87
	ds_store_b32 v164, v18 offset:476
	ds_store_b32 v164, v19 offset:952
	;; [unrolled: 1-line block ×5, first 2 shown]
	v_pack_b32_f16 v1, v39, v46
	v_pack_b32_f16 v6, v43, v51
	;; [unrolled: 1-line block ×4, first 2 shown]
	v_fmac_f16_e32 v40, 0x38b4, v20
	v_fmac_f16_e32 v41, 0xb8b4, v20
	v_pack_b32_f16 v18, v57, v63
	v_pack_b32_f16 v19, v60, v66
	v_add_nc_u32_e32 v20, 0x400, v22
	v_pack_b32_f16 v17, v59, v64
	v_pack_b32_f16 v4, v4, v16
	;; [unrolled: 1-line block ×4, first 2 shown]
	ds_store_b32 v164, v1 offset:544
	ds_store_b32 v164, v6 offset:1020
	;; [unrolled: 1-line block ×4, first 2 shown]
	ds_store_2addr_b32 v22, v18, v19 offset0:119 offset1:238
	ds_store_2addr_b32 v20, v4, v16 offset0:101 offset1:220
	ds_store_2addr_b32 v130, v17, v21 offset0:34 offset1:51
	v_add_nc_u32_e32 v20, 0xcc, v130
	v_add_f16_e32 v25, v37, v27
	v_sub_f16_e32 v37, v27, v23
	v_add_nc_u32_e32 v19, 0x110, v130
	v_pack_b32_f16 v1, v68, v70
	v_pack_b32_f16 v4, v69, v73
	;; [unrolled: 1-line block ×4, first 2 shown]
	v_add_nc_u32_e32 v7, 0x400, v20
	v_add_f16_e32 v23, v29, v37
	v_pack_b32_f16 v12, v77, v75
	v_pack_b32_f16 v16, v72, v78
	v_pack_b32_f16 v2, v2, v15
	v_pack_b32_f16 v15, v79, v82
	v_add_nc_u32_e32 v17, 0x400, v19
	v_pack_b32_f16 v11, v62, v58
	v_pack_b32_f16 v18, v47, v42
	ds_store_2addr_b32 v20, v1, v4 offset0:119 offset1:238
	ds_store_2addr_b32 v7, v5, v6 offset0:101 offset1:220
	;; [unrolled: 1-line block ×5, first 2 shown]
	v_add_nc_u32_e32 v15, 0x154, v130
	v_fmac_f16_e32 v40, 0x34f2, v23
	v_fmac_f16_e32 v41, 0x34f2, v23
	v_add_nc_u32_e32 v12, 0x198, v130
	v_pack_b32_f16 v1, v49, v50
	v_pack_b32_f16 v2, v48, v54
	;; [unrolled: 1-line block ×4, first 2 shown]
	v_add_nc_u32_e32 v5, 0x400, v15
	v_pack_b32_f16 v6, v31, v25
	v_pack_b32_f16 v7, v38, v40
	;; [unrolled: 1-line block ×5, first 2 shown]
	v_add_nc_u32_e32 v11, 0x400, v12
	ds_store_2addr_b32 v15, v1, v2 offset0:119 offset1:238
	ds_store_2addr_b32 v5, v3, v4 offset0:101 offset1:220
	ds_store_b32 v130, v6 offset:408
	ds_store_2addr_b32 v12, v7, v10 offset0:119 offset1:238
	ds_store_2addr_b32 v11, v0, v9 offset0:101 offset1:220
	global_wb scope:SCOPE_SE
	s_wait_dscnt 0x0
	s_barrier_signal -1
	s_barrier_wait -1
	global_inv scope:SCOPE_SE
	s_clause 0x7
	scratch_load_b32 v3, off, off offset:236 th:TH_LOAD_LU
	scratch_load_b32 v18, off, off offset:232 th:TH_LOAD_LU
	;; [unrolled: 1-line block ×8, first 2 shown]
	ds_load_2addr_b32 v[9:10], v130 offset1:17
	s_mov_b32 s9, 0x3f5b8940
	s_clause 0x4
	scratch_load_b32 v28, off, off offset:212 th:TH_LOAD_LU
	scratch_load_b32 v30, off, off offset:204 th:TH_LOAD_LU
	;; [unrolled: 1-line block ×5, first 2 shown]
	s_wait_dscnt 0x0
	v_lshrrev_b32_e32 v2, 16, v9
	s_wait_loadcnt 0xc
	s_delay_alu instid0(VALU_DEP_1) | instskip(SKIP_2) | instid1(VALU_DEP_2)
	v_mul_f16_e32 v0, v3, v2
	v_mul_f16_e32 v3, v3, v9
	s_wait_loadcnt 0x8
	v_fmac_f16_e32 v0, v4, v9
	s_delay_alu instid0(VALU_DEP_2) | instskip(SKIP_3) | instid1(VALU_DEP_2)
	v_fma_f16 v2, v4, v2, -v3
	ds_load_2addr_b32 v[4:5], v130 offset0:68 offset1:85
	v_cvt_f32_f16_e32 v0, v0
	v_cvt_f32_f16_e32 v2, v2
	v_cvt_f64_f32_e32 v[0:1], v0
	s_delay_alu instid0(VALU_DEP_2) | instskip(SKIP_2) | instid1(VALU_DEP_1)
	v_cvt_f64_f32_e32 v[2:3], v2
	s_wait_dscnt 0x0
	v_lshrrev_b32_e32 v9, 16, v5
	v_mul_f16_e32 v6, v18, v9
	s_wait_loadcnt 0x7
	s_delay_alu instid0(VALU_DEP_1) | instskip(SKIP_1) | instid1(VALU_DEP_2)
	v_fmac_f16_e32 v6, v24, v5
	v_mul_f16_e32 v5, v18, v5
	v_cvt_f32_f16_e32 v6, v6
	s_delay_alu instid0(VALU_DEP_2) | instskip(NEXT) | instid1(VALU_DEP_1)
	v_fma_f16 v5, v24, v9, -v5
	v_cvt_f32_f16_e32 v5, v5
	s_wait_alu 0xfffe
	v_mul_f64_e32 v[0:1], s[8:9], v[0:1]
	v_mul_f64_e32 v[2:3], s[8:9], v[2:3]
	s_delay_alu instid0(VALU_DEP_2) | instskip(SKIP_2) | instid1(VALU_DEP_4)
	v_and_or_b32 v0, 0x1ff, v1, v0
	v_lshrrev_b32_e32 v7, 8, v1
	v_bfe_u32 v11, v1, 20, 11
	v_and_or_b32 v2, 0x1ff, v3, v2
	v_bfe_u32 v20, v3, 20, 11
	v_cmp_ne_u32_e32 vcc_lo, 0, v0
	s_delay_alu instid0(VALU_DEP_4) | instskip(SKIP_2) | instid1(VALU_DEP_1)
	v_add_nc_u32_e32 v19, 0xfffffc10, v11
	s_wait_alu 0xfffd
	v_cndmask_b32_e64 v0, 0, 1, vcc_lo
	v_and_or_b32 v0, 0xffe, v7, v0
	v_sub_nc_u32_e32 v7, 0x3f1, v11
	v_lshrrev_b32_e32 v11, 8, v3
	v_lshrrev_b32_e32 v3, 16, v3
	s_delay_alu instid0(VALU_DEP_4) | instskip(NEXT) | instid1(VALU_DEP_4)
	v_or_b32_e32 v12, 0x1000, v0
	v_med3_i32 v15, v7, 0, 13
	v_cvt_f64_f32_e32 v[6:7], v6
	s_delay_alu instid0(VALU_DEP_2) | instskip(NEXT) | instid1(VALU_DEP_1)
	v_lshrrev_b32_e32 v16, v15, v12
	v_lshlrev_b32_e32 v15, v15, v16
	s_delay_alu instid0(VALU_DEP_1) | instskip(SKIP_4) | instid1(VALU_DEP_2)
	v_cmp_ne_u32_e32 vcc_lo, v15, v12
	v_lshl_or_b32 v15, v19, 12, v0
	s_wait_alu 0xfffd
	v_cndmask_b32_e64 v12, 0, 1, vcc_lo
	v_cmp_ne_u32_e32 vcc_lo, 0, v2
	v_or_b32_e32 v12, v16, v12
	s_wait_alu 0xfffd
	v_cndmask_b32_e64 v2, 0, 1, vcc_lo
	v_cmp_gt_i32_e32 vcc_lo, 1, v19
	s_delay_alu instid0(VALU_DEP_2) | instskip(SKIP_3) | instid1(VALU_DEP_3)
	v_and_or_b32 v21, 0xffe, v11, v2
	s_wait_alu 0xfffd
	v_cndmask_b32_e32 v17, v15, v12, vcc_lo
	v_sub_nc_u32_e32 v2, 0x3f1, v20
	v_or_b32_e32 v22, 0x1000, v21
	s_delay_alu instid0(VALU_DEP_3)
	v_and_b32_e32 v18, 7, v17
	v_lshrrev_b32_e32 v9, 2, v17
	v_mul_f64_e32 v[11:12], s[8:9], v[6:7]
	scratch_load_b64 v[6:7], off, off offset:240 th:TH_LOAD_LU ; 8-byte Folded Reload
	v_med3_i32 v2, v2, 0, 13
	v_cmp_lt_i32_e32 vcc_lo, 5, v18
	v_cmp_eq_u32_e64 s0, 3, v18
	v_cvt_f64_f32_e32 v[17:18], v5
	s_delay_alu instid0(VALU_DEP_4) | instskip(NEXT) | instid1(VALU_DEP_3)
	v_lshrrev_b32_e32 v23, v2, v22
	s_or_b32 vcc_lo, s0, vcc_lo
	s_wait_alu 0xfffe
	v_add_co_ci_u32_e32 v5, vcc_lo, 0, v9, vcc_lo
	v_cmp_ne_u32_e32 vcc_lo, 0, v0
	s_wait_alu 0xfffd
	v_cndmask_b32_e64 v0, 0, 1, vcc_lo
	v_cmp_gt_i32_e32 vcc_lo, 31, v19
	s_wait_alu 0xfffd
	v_dual_cndmask_b32 v5, 0x7c00, v5 :: v_dual_lshlrev_b32 v2, v2, v23
	s_delay_alu instid0(VALU_DEP_1) | instskip(SKIP_3) | instid1(VALU_DEP_3)
	v_cmp_ne_u32_e64 s1, v2, v22
	v_add_nc_u32_e32 v22, 0xfffffc10, v20
	v_lshl_or_b32 v20, v0, 9, 0x7c00
	s_wait_alu 0xf1ff
	v_cndmask_b32_e64 v2, 0, 1, s1
	s_delay_alu instid0(VALU_DEP_3) | instskip(SKIP_1) | instid1(VALU_DEP_3)
	v_lshl_or_b32 v9, v22, 12, v21
	v_cmp_gt_i32_e32 vcc_lo, 1, v22
	v_or_b32_e32 v2, v23, v2
	s_wait_alu 0xfffd
	s_delay_alu instid0(VALU_DEP_1)
	v_cndmask_b32_e32 v2, v9, v2, vcc_lo
	v_cmp_eq_u32_e32 vcc_lo, 0x40f, v19
	v_lshrrev_b32_e32 v19, 16, v1
	v_mul_f64_e32 v[17:18], s[8:9], v[17:18]
	s_wait_alu 0xfffd
	v_cndmask_b32_e32 v5, v5, v20, vcc_lo
	s_delay_alu instid0(VALU_DEP_1)
	v_and_or_b32 v23, 0x8000, v19, v5
	v_and_or_b32 v5, 0x1ff, v12, v11
	v_mad_co_u64_u32 v[19:20], null, s4, v186, 0
	s_wait_loadcnt 0x0
	v_mov_b32_e32 v24, v6
	ds_load_2addr_b32 v[6:7], v130 offset0:170 offset1:187
	v_mad_co_u64_u32 v[15:16], null, s6, v24, 0
	s_delay_alu instid0(VALU_DEP_1) | instskip(SKIP_2) | instid1(VALU_DEP_3)
	v_mov_b32_e32 v0, v16
	v_and_b32_e32 v16, 7, v2
	v_lshrrev_b32_e32 v2, 2, v2
	v_mad_co_u64_u32 v[0:1], null, s7, v24, v[0:1]
	s_delay_alu instid0(VALU_DEP_3)
	v_cmp_lt_i32_e32 vcc_lo, 5, v16
	s_wait_dscnt 0x0
	v_lshrrev_b32_e32 v9, 16, v6
	v_cmp_eq_u32_e64 s0, 3, v16
	v_lshrrev_b32_e32 v16, 8, v12
	v_bfe_u32 v24, v12, 20, 11
	s_movk_i32 s6, 0xf84c
	v_mul_f16_e32 v1, v29, v9
	s_or_b32 vcc_lo, s0, vcc_lo
	s_mov_b32 s7, -1
	s_wait_alu 0xfffe
	v_add_co_ci_u32_e32 v11, vcc_lo, 0, v2, vcc_lo
	v_fmac_f16_e32 v1, v28, v6
	v_cmp_ne_u32_e32 vcc_lo, 0, v5
	s_mul_u64 s[6:7], s[4:5], s[6:7]
	s_delay_alu instid0(VALU_DEP_2) | instskip(SKIP_3) | instid1(VALU_DEP_3)
	v_cvt_f32_f16_e32 v1, v1
	s_wait_alu 0xfffd
	v_cndmask_b32_e64 v5, 0, 1, vcc_lo
	v_cmp_ne_u32_e32 vcc_lo, 0, v21
	v_cvt_f64_f32_e32 v[1:2], v1
	s_delay_alu instid0(VALU_DEP_3)
	v_and_or_b32 v25, 0xffe, v16, v5
	s_wait_alu 0xfffd
	v_cndmask_b32_e64 v21, 0, 1, vcc_lo
	v_sub_nc_u32_e32 v16, 0x3f1, v24
	v_cmp_gt_i32_e32 vcc_lo, 31, v22
	v_mov_b32_e32 v5, v20
	v_or_b32_e32 v26, 0x1000, v25
	v_lshl_or_b32 v21, v21, 9, 0x7c00
	v_med3_i32 v27, v16, 0, 13
	s_wait_alu 0xfffd
	v_cndmask_b32_e32 v11, 0x7c00, v11, vcc_lo
	v_cmp_eq_u32_e32 vcc_lo, 0x40f, v22
	s_wait_alu 0xfffd
	s_delay_alu instid0(VALU_DEP_2) | instskip(SKIP_2) | instid1(VALU_DEP_3)
	v_dual_mov_b32 v16, v0 :: v_dual_cndmask_b32 v11, v11, v21
	v_mad_co_u64_u32 v[20:21], null, s5, v186, v[5:6]
	v_lshrrev_b32_e32 v5, v27, v26
	v_lshlrev_b64_e32 v[15:16], 2, v[15:16]
	s_delay_alu instid0(VALU_DEP_4) | instskip(SKIP_1) | instid1(VALU_DEP_4)
	v_and_or_b32 v0, 0x8000, v3, v11
	v_and_b32_e32 v3, 0xffff, v23
	v_lshlrev_b32_e32 v11, v27, v5
	s_delay_alu instid0(VALU_DEP_2) | instskip(SKIP_1) | instid1(VALU_DEP_3)
	v_lshl_or_b32 v23, v0, 16, v3
	v_mul_f16_e32 v3, v29, v6
	v_cmp_ne_u32_e32 vcc_lo, v11, v26
	v_and_or_b32 v6, 0x1ff, v18, v17
	v_add_nc_u32_e32 v11, 0xfffffc10, v24
	v_bfe_u32 v24, v18, 20, 11
	s_wait_alu 0xfffd
	v_cndmask_b32_e64 v0, 0, 1, vcc_lo
	v_add_co_u32 v15, vcc_lo, s2, v15
	s_wait_alu 0xfffd
	v_add_co_ci_u32_e32 v16, vcc_lo, s3, v16, vcc_lo
	v_cmp_ne_u32_e32 vcc_lo, 0, v6
	v_or_b32_e32 v5, v5, v0
	v_mul_f64_e32 v[0:1], s[8:9], v[1:2]
	v_fma_f16 v2, v28, v9, -v3
	v_lshrrev_b32_e32 v9, 8, v18
	s_wait_alu 0xfffd
	v_cndmask_b32_e64 v3, 0, 1, vcc_lo
	v_lshl_or_b32 v17, v11, 12, v25
	v_cmp_gt_i32_e32 vcc_lo, 1, v11
	v_cvt_f32_f16_e32 v2, v2
	v_sub_nc_u32_e32 v21, 0x3f1, v24
	v_and_or_b32 v9, 0xffe, v9, v3
	s_mul_u64 s[2:3], s[4:5], 0x154
	s_wait_alu 0xfffd
	v_cndmask_b32_e32 v17, v17, v5, vcc_lo
	v_lshlrev_b64_e32 v[5:6], 2, v[19:20]
	v_cvt_f64_f32_e32 v[19:20], v2
	ds_load_2addr_b32 v[2:3], v130 offset0:238 offset1:255
	v_or_b32_e32 v27, 0x1000, v9
	v_med3_i32 v28, v21, 0, 13
	v_and_b32_e32 v26, 7, v17
	v_add_co_u32 v21, vcc_lo, v15, v5
	s_wait_alu 0xfffd
	v_add_co_ci_u32_e32 v22, vcc_lo, v16, v6, vcc_lo
	v_lshrrev_b32_e32 v5, v28, v27
	v_cmp_lt_i32_e32 vcc_lo, 5, v26
	v_cmp_eq_u32_e64 s0, 3, v26
	v_lshrrev_b32_e32 v6, 2, v17
	global_store_b32 v[21:22], v23, off
	v_lshlrev_b32_e32 v17, v28, v5
	v_add_nc_u32_e32 v23, 0xfffffc10, v24
	s_or_b32 vcc_lo, s0, vcc_lo
	s_wait_alu 0xfffe
	v_add_co_u32 v21, s1, v21, s2
	v_add_co_ci_u32_e32 v6, vcc_lo, 0, v6, vcc_lo
	v_cmp_ne_u32_e32 vcc_lo, v17, v27
	s_wait_dscnt 0x0
	v_lshrrev_b32_e32 v24, 16, v3
	s_wait_alu 0xf1ff
	v_add_co_ci_u32_e64 v22, s1, s3, v22, s1
	s_wait_alu 0xfffd
	v_cndmask_b32_e64 v17, 0, 1, vcc_lo
	v_cmp_gt_i32_e32 vcc_lo, 31, v11
	v_and_or_b32 v0, 0x1ff, v1, v0
	v_bfe_u32 v28, v1, 20, 11
	s_delay_alu instid0(VALU_DEP_4)
	v_or_b32_e32 v5, v5, v17
	v_mul_f16_e32 v17, v31, v24
	s_wait_alu 0xfffd
	v_cndmask_b32_e32 v26, 0x7c00, v6, vcc_lo
	v_cmp_ne_u32_e32 vcc_lo, 0, v25
	v_lshl_or_b32 v6, v23, 12, v9
	v_sub_nc_u32_e32 v29, 0x3f1, v28
	v_fmac_f16_e32 v17, v30, v3
	v_mul_f16_e32 v3, v31, v3
	scratch_load_b32 v31, off, off offset:196 th:TH_LOAD_LU ; 4-byte Folded Reload
	s_wait_alu 0xfffd
	v_cndmask_b32_e64 v25, 0, 1, vcc_lo
	v_cmp_gt_i32_e32 vcc_lo, 1, v23
	v_mul_f64_e32 v[19:20], s[8:9], v[19:20]
	v_fma_f16 v3, v30, v24, -v3
	v_lshrrev_b32_e32 v24, 16, v12
	s_wait_alu 0xfffd
	v_cndmask_b32_e32 v27, v6, v5, vcc_lo
	v_cmp_ne_u32_e32 vcc_lo, 0, v0
	v_lshrrev_b32_e32 v5, 8, v1
	v_cvt_f32_f16_e32 v6, v17
	v_lshl_or_b32 v17, v25, 9, 0x7c00
	v_and_b32_e32 v25, 7, v27
	s_wait_alu 0xfffd
	v_cndmask_b32_e64 v0, 0, 1, vcc_lo
	v_cmp_eq_u32_e32 vcc_lo, 0x40f, v11
	v_lshrrev_b32_e32 v12, 2, v27
	v_med3_i32 v11, v29, 0, 13
	v_cmp_eq_u32_e64 s0, 3, v25
	v_and_or_b32 v0, 0xffe, v5, v0
	v_cvt_f64_f32_e32 v[5:6], v6
	s_wait_alu 0xfffd
	v_cndmask_b32_e32 v17, v26, v17, vcc_lo
	v_cmp_lt_i32_e32 vcc_lo, 5, v25
	v_cvt_f32_f16_e32 v3, v3
	v_or_b32_e32 v26, 0x1000, v0
	s_delay_alu instid0(VALU_DEP_4)
	v_and_or_b32 v17, 0x8000, v24, v17
	s_or_b32 vcc_lo, s0, vcc_lo
	s_wait_alu 0xfffe
	v_add_co_ci_u32_e32 v27, vcc_lo, 0, v12, vcc_lo
	v_lshrrev_b32_e32 v25, v11, v26
	v_cmp_ne_u32_e32 vcc_lo, 0, v9
	s_delay_alu instid0(VALU_DEP_2) | instskip(SKIP_4) | instid1(VALU_DEP_3)
	v_lshlrev_b32_e32 v29, v11, v25
	s_wait_alu 0xfffd
	v_cndmask_b32_e64 v9, 0, 1, vcc_lo
	v_cmp_gt_i32_e32 vcc_lo, 31, v23
	v_cvt_f64_f32_e32 v[11:12], v3
	v_lshl_or_b32 v9, v9, 9, 0x7c00
	s_wait_alu 0xfffd
	v_cndmask_b32_e32 v3, 0x7c00, v27, vcc_lo
	v_cmp_ne_u32_e32 vcc_lo, v29, v26
	v_add_nc_u32_e32 v27, 0xfffffc10, v28
	v_and_or_b32 v19, 0x1ff, v20, v19
	v_lshrrev_b32_e32 v24, 8, v20
	s_wait_alu 0xfffd
	v_cndmask_b32_e64 v26, 0, 1, vcc_lo
	v_cmp_eq_u32_e32 vcc_lo, 0x40f, v23
	v_lshl_or_b32 v23, v27, 12, v0
	s_wait_alu 0xfffd
	v_cndmask_b32_e32 v3, v3, v9, vcc_lo
	v_lshrrev_b32_e32 v9, 16, v18
	v_or_b32_e32 v18, v25, v26
	v_cmp_gt_i32_e32 vcc_lo, 1, v27
	v_bfe_u32 v25, v20, 20, 11
	v_lshrrev_b32_e32 v20, 16, v20
	v_and_or_b32 v3, 0x8000, v9, v3
	v_and_b32_e32 v9, 0xffff, v17
	s_wait_alu 0xfffd
	v_cndmask_b32_e32 v23, v23, v18, vcc_lo
	v_cmp_ne_u32_e32 vcc_lo, 0, v19
	v_mul_f64_e32 v[17:18], s[8:9], v[5:6]
	ds_load_2addr_b32 v[5:6], v13 offset0:84 offset1:101
	v_lshl_or_b32 v3, v3, 16, v9
	v_and_b32_e32 v9, 7, v23
	s_wait_alu 0xfffd
	v_cndmask_b32_e64 v19, 0, 1, vcc_lo
	v_lshrrev_b32_e32 v23, 2, v23
	global_store_b32 v[21:22], v3, off
	v_cmp_lt_i32_e32 vcc_lo, 5, v9
	v_and_or_b32 v19, 0xffe, v24, v19
	v_sub_nc_u32_e32 v24, 0x3f1, v25
	v_cmp_eq_u32_e64 s0, 3, v9
	v_mul_f64_e32 v[11:12], s[8:9], v[11:12]
	s_delay_alu instid0(VALU_DEP_4) | instskip(NEXT) | instid1(VALU_DEP_4)
	v_or_b32_e32 v9, 0x1000, v19
	v_med3_i32 v24, v24, 0, 13
	s_delay_alu instid0(VALU_DEP_4) | instskip(SKIP_2) | instid1(VALU_DEP_2)
	s_or_b32 vcc_lo, s0, vcc_lo
	s_wait_alu 0xfffe
	v_add_co_ci_u32_e32 v23, vcc_lo, 0, v23, vcc_lo
	v_lshrrev_b32_e32 v26, v24, v9
	v_cmp_ne_u32_e32 vcc_lo, 0, v0
	s_wait_dscnt 0x0
	v_lshrrev_b32_e32 v28, 16, v5
	s_delay_alu instid0(VALU_DEP_3) | instskip(SKIP_4) | instid1(VALU_DEP_3)
	v_lshlrev_b32_e32 v24, v24, v26
	s_wait_alu 0xfffd
	v_cndmask_b32_e64 v0, 0, 1, vcc_lo
	v_cmp_gt_i32_e32 vcc_lo, 31, v27
	v_mul_f16_e32 v29, v32, v28
	v_lshl_or_b32 v0, v0, 9, 0x7c00
	s_wait_alu 0xfffd
	v_cndmask_b32_e32 v23, 0x7c00, v23, vcc_lo
	v_cmp_ne_u32_e32 vcc_lo, v24, v9
	v_lshrrev_b32_e32 v24, 16, v1
	s_wait_alu 0xfffd
	v_cndmask_b32_e64 v9, 0, 1, vcc_lo
	v_cmp_eq_u32_e32 vcc_lo, 0x40f, v27
	v_add_nc_u32_e32 v30, 0xfffffc10, v25
	v_and_or_b32 v17, 0x1ff, v18, v17
	v_lshrrev_b32_e32 v25, 8, v18
	s_wait_alu 0xfffd
	v_cndmask_b32_e32 v23, v23, v0, vcc_lo
	v_or_b32_e32 v0, v26, v9
	v_bfe_u32 v26, v18, 20, 11
	v_lshl_or_b32 v9, v30, 12, v19
	v_cmp_gt_i32_e32 vcc_lo, 1, v30
	v_and_or_b32 v3, 0x8000, v24, v23
	v_and_or_b32 v11, 0x1ff, v12, v11
	v_sub_nc_u32_e32 v23, 0x3f1, v26
	v_lshrrev_b32_e32 v24, 8, v12
	v_lshrrev_b32_e32 v18, 16, v18
	v_and_b32_e32 v3, 0xffff, v3
	s_delay_alu instid0(VALU_DEP_4) | instskip(SKIP_3) | instid1(VALU_DEP_2)
	v_med3_i32 v23, v23, 0, 13
	s_wait_alu 0xfffd
	v_cndmask_b32_e32 v9, v9, v0, vcc_lo
	v_cmp_ne_u32_e32 vcc_lo, 0, v17
	v_and_b32_e32 v27, 7, v9
	s_wait_alu 0xfffd
	v_cndmask_b32_e64 v17, 0, 1, vcc_lo
	s_delay_alu instid0(VALU_DEP_2) | instskip(NEXT) | instid1(VALU_DEP_2)
	v_cmp_lt_i32_e32 vcc_lo, 5, v27
	v_and_or_b32 v17, 0xffe, v25, v17
	v_cmp_eq_u32_e64 s0, 3, v27
	s_delay_alu instid0(VALU_DEP_2) | instskip(NEXT) | instid1(VALU_DEP_2)
	v_or_b32_e32 v25, 0x1000, v17
	s_or_b32 vcc_lo, s0, vcc_lo
	s_delay_alu instid0(VALU_DEP_1) | instskip(SKIP_3) | instid1(VALU_DEP_2)
	v_lshrrev_b32_e32 v27, v23, v25
	s_wait_loadcnt 0x0
	v_fmac_f16_e32 v29, v31, v5
	v_mul_f16_e32 v5, v32, v5
	v_cvt_f32_f16_e32 v1, v29
	s_delay_alu instid0(VALU_DEP_2)
	v_fma_f16 v5, v31, v28, -v5
	v_lshlrev_b32_e32 v28, v23, v27
	v_lshrrev_b32_e32 v9, 2, v9
	v_bfe_u32 v29, v12, 20, 11
	v_cvt_f64_f32_e32 v[0:1], v1
	v_cvt_f32_f16_e32 v5, v5
	s_wait_alu 0xfffe
	v_add_co_ci_u32_e32 v9, vcc_lo, 0, v9, vcc_lo
	v_cmp_ne_u32_e32 vcc_lo, 0, v11
	v_sub_nc_u32_e32 v31, 0x3f1, v29
	s_wait_alu 0xfffd
	v_cndmask_b32_e64 v11, 0, 1, vcc_lo
	v_cmp_gt_i32_e32 vcc_lo, 31, v30
	s_delay_alu instid0(VALU_DEP_2)
	v_and_or_b32 v11, 0xffe, v24, v11
	s_wait_alu 0xfffd
	v_cndmask_b32_e32 v9, 0x7c00, v9, vcc_lo
	v_cmp_ne_u32_e32 vcc_lo, 0, v19
	v_cvt_f64_f32_e32 v[23:24], v5
	v_med3_i32 v5, v31, 0, 13
	v_or_b32_e32 v32, 0x1000, v11
	v_add_nc_u32_e32 v31, 0xfffffc10, v26
	s_wait_alu 0xfffd
	v_cndmask_b32_e64 v19, 0, 1, vcc_lo
	v_cmp_ne_u32_e32 vcc_lo, v28, v25
	v_lshrrev_b32_e32 v33, v5, v32
	s_delay_alu instid0(VALU_DEP_3) | instskip(SKIP_4) | instid1(VALU_DEP_3)
	v_lshl_or_b32 v19, v19, 9, 0x7c00
	s_wait_alu 0xfffd
	v_cndmask_b32_e64 v28, 0, 1, vcc_lo
	v_cmp_eq_u32_e32 vcc_lo, 0x40f, v30
	v_lshlrev_b32_e32 v5, v5, v33
	v_or_b32_e32 v27, v27, v28
	v_lshl_or_b32 v28, v31, 12, v17
	s_wait_alu 0xfffd
	v_cndmask_b32_e32 v9, v9, v19, vcc_lo
	v_cmp_gt_i32_e32 vcc_lo, 1, v31
	v_mul_f64_e32 v[25:26], s[8:9], v[0:1]
	ds_load_2addr_b32 v[0:1], v13 offset0:152 offset1:169
	v_and_or_b32 v9, 0x8000, v20, v9
	s_wait_alu 0xfffd
	v_cndmask_b32_e32 v19, v28, v27, vcc_lo
	v_cmp_ne_u32_e32 vcc_lo, v5, v32
	v_add_nc_u32_e32 v27, 0xfffffc10, v29
	v_lshl_or_b32 v3, v9, 16, v3
	s_delay_alu instid0(VALU_DEP_4)
	v_and_b32_e32 v28, 7, v19
	s_wait_alu 0xfffd
	v_cndmask_b32_e64 v5, 0, 1, vcc_lo
	v_lshrrev_b32_e32 v19, 2, v19
	v_lshl_or_b32 v20, v27, 12, v11
	v_cmp_gt_i32_e64 s1, 1, v27
	v_cmp_lt_i32_e32 vcc_lo, 5, v28
	v_cmp_eq_u32_e64 s0, 3, v28
	v_or_b32_e32 v5, v33, v5
	s_delay_alu instid0(VALU_DEP_2) | instskip(NEXT) | instid1(VALU_DEP_1)
	s_or_b32 vcc_lo, s0, vcc_lo
	v_cndmask_b32_e64 v5, v20, v5, s1
	s_wait_alu 0xfffe
	v_add_co_ci_u32_e32 v29, vcc_lo, 0, v19, vcc_lo
	s_wait_dscnt 0x0
	v_lshrrev_b32_e32 v28, 16, v1
	v_cmp_ne_u32_e32 vcc_lo, 0, v17
	v_and_b32_e32 v30, 7, v5
	v_mul_f64_e32 v[19:20], s[8:9], v[23:24]
	v_lshrrev_b32_e32 v5, 2, v5
	v_mul_f16_e32 v32, v35, v28
	s_wait_alu 0xfffd
	v_cndmask_b32_e64 v17, 0, 1, vcc_lo
	v_cmp_gt_i32_e32 vcc_lo, 31, v31
	v_cmp_eq_u32_e64 s0, 3, v30
	v_fmac_f16_e32 v32, v34, v1
	s_delay_alu instid0(VALU_DEP_4)
	v_lshl_or_b32 v17, v17, 9, 0x7c00
	s_wait_alu 0xfffd
	v_cndmask_b32_e32 v29, 0x7c00, v29, vcc_lo
	v_cmp_lt_i32_e32 vcc_lo, 5, v30
	v_mul_f16_e32 v1, v35, v1
	v_and_or_b32 v23, 0x1ff, v26, v25
	v_cvt_f32_f16_e32 v24, v32
	v_lshrrev_b32_e32 v30, 8, v26
	s_or_b32 vcc_lo, s0, vcc_lo
	v_bfe_u32 v32, v26, 20, 11
	v_cmp_ne_u32_e64 s1, 0, v23
	s_wait_alu 0xfffe
	v_add_co_ci_u32_e32 v5, vcc_lo, 0, v5, vcc_lo
	v_cmp_ne_u32_e32 vcc_lo, 0, v11
	v_cvt_f64_f32_e32 v[23:24], v24
	s_wait_alu 0xf1ff
	v_cndmask_b32_e64 v25, 0, 1, s1
	v_fma_f16 v1, v34, v28, -v1
	v_lshrrev_b32_e32 v26, 16, v26
	s_wait_alu 0xfffd
	v_cndmask_b32_e64 v11, 0, 1, vcc_lo
	v_cmp_gt_i32_e32 vcc_lo, 31, v27
	v_and_or_b32 v25, 0xffe, v30, v25
	v_sub_nc_u32_e32 v30, 0x3f1, v32
	v_cvt_f32_f16_e32 v1, v1
	v_lshl_or_b32 v11, v11, 9, 0x7c00
	s_wait_alu 0xfffd
	v_cndmask_b32_e32 v5, 0x7c00, v5, vcc_lo
	v_or_b32_e32 v33, 0x1000, v25
	v_med3_i32 v30, v30, 0, 13
	v_cmp_eq_u32_e32 vcc_lo, 0x40f, v31
	v_bfe_u32 v28, v20, 20, 11
	s_wait_alu 0xfffd
	v_cndmask_b32_e32 v17, v29, v17, vcc_lo
	v_lshrrev_b32_e32 v29, v30, v33
	v_cmp_eq_u32_e32 vcc_lo, 0x40f, v27
	v_sub_nc_u32_e32 v31, 0x3f1, v28
	s_delay_alu instid0(VALU_DEP_4) | instskip(NEXT) | instid1(VALU_DEP_4)
	v_and_or_b32 v27, 0x8000, v18, v17
	v_lshlrev_b32_e32 v9, v30, v29
	s_wait_alu 0xfffd
	v_cndmask_b32_e32 v5, v5, v11, vcc_lo
	v_lshrrev_b32_e32 v11, 16, v12
	v_lshrrev_b32_e32 v18, 8, v20
	v_cmp_ne_u32_e32 vcc_lo, v9, v33
	s_delay_alu instid0(VALU_DEP_3) | instskip(SKIP_4) | instid1(VALU_DEP_3)
	v_and_or_b32 v5, 0x8000, v11, v5
	v_and_or_b32 v11, 0x1ff, v20, v19
	v_add_nc_u32_e32 v19, 0xfffffc10, v32
	s_wait_alu 0xfffd
	v_cndmask_b32_e64 v9, 0, 1, vcc_lo
	v_cmp_ne_u32_e32 vcc_lo, 0, v11
	v_cvt_f64_f32_e32 v[11:12], v1
	s_delay_alu instid0(VALU_DEP_3)
	v_or_b32_e32 v29, v29, v9
	v_lshl_or_b32 v30, v19, 12, v25
	ds_load_2addr_b32 v[8:9], v8 offset0:126 offset1:143
	s_wait_alu 0xfffd
	v_cndmask_b32_e64 v17, 0, 1, vcc_lo
	v_cmp_gt_i32_e32 vcc_lo, 1, v19
	s_delay_alu instid0(VALU_DEP_2)
	v_and_or_b32 v1, 0xffe, v18, v17
	v_mul_f64_e32 v[17:18], s[8:9], v[23:24]
	v_and_b32_e32 v23, 0xffff, v27
	s_wait_alu 0xfffd
	v_cndmask_b32_e32 v27, v30, v29, vcc_lo
	v_med3_i32 v30, v31, 0, 13
	v_or_b32_e32 v29, 0x1000, v1
	v_add_co_u32 v21, vcc_lo, v21, s2
	s_wait_alu 0xfffd
	v_add_co_ci_u32_e32 v22, vcc_lo, s3, v22, vcc_lo
	s_delay_alu instid0(VALU_DEP_3) | instskip(SKIP_3) | instid1(VALU_DEP_4)
	v_lshrrev_b32_e32 v32, v30, v29
	v_and_b32_e32 v31, 7, v27
	v_lshl_or_b32 v5, v5, 16, v23
	v_add_co_u32 v23, vcc_lo, v21, s2
	v_lshlrev_b32_e32 v30, v30, v32
	s_wait_alu 0xfffd
	v_add_co_ci_u32_e32 v24, vcc_lo, s3, v22, vcc_lo
	v_cmp_lt_i32_e32 vcc_lo, 5, v31
	v_cmp_eq_u32_e64 s0, 3, v31
	v_lshrrev_b32_e32 v27, 2, v27
	v_cmp_ne_u32_e64 s1, v30, v29
	s_wait_dscnt 0x0
	v_lshrrev_b32_e32 v31, 16, v8
	v_add_nc_u32_e32 v30, 0xfffffc10, v28
	s_or_b32 vcc_lo, s0, vcc_lo
	s_clause 0x1
	global_store_b32 v[21:22], v3, off
	global_store_b32 v[23:24], v5, off
	s_wait_alu 0xfffe
	v_add_co_ci_u32_e32 v27, vcc_lo, 0, v27, vcc_lo
	v_cndmask_b32_e64 v29, 0, 1, s1
	v_cmp_ne_u32_e32 vcc_lo, 0, v25
	v_mul_f16_e32 v28, v37, v31
	v_mul_f64_e32 v[11:12], s[8:9], v[11:12]
	s_delay_alu instid0(VALU_DEP_4)
	v_or_b32_e32 v29, v32, v29
	v_lshl_or_b32 v32, v30, 12, v1
	s_wait_alu 0xfffd
	v_cndmask_b32_e64 v25, 0, 1, vcc_lo
	v_cmp_gt_i32_e32 vcc_lo, 1, v30
	v_fmac_f16_e32 v28, v36, v8
	v_mul_f16_e32 v8, v37, v8
	v_and_or_b32 v17, 0x1ff, v18, v17
	v_lshl_or_b32 v25, v25, 9, 0x7c00
	s_wait_alu 0xfffd
	v_cndmask_b32_e32 v29, v32, v29, vcc_lo
	v_cmp_gt_i32_e32 vcc_lo, 31, v19
	v_cvt_f32_f16_e32 v28, v28
	v_lshrrev_b32_e32 v34, 8, v18
	v_bfe_u32 v35, v18, 20, 11
	s_wait_alu 0xfffd
	v_dual_cndmask_b32 v32, 0x7c00, v27 :: v_dual_and_b32 v33, 7, v29
	v_cmp_ne_u32_e32 vcc_lo, 0, v17
	v_cvt_f64_f32_e32 v[27:28], v28
	v_lshrrev_b32_e32 v29, 2, v29
	s_delay_alu instid0(VALU_DEP_4)
	v_cmp_eq_u32_e64 s0, 3, v33
	v_fma_f16 v8, v36, v31, -v8
	s_wait_alu 0xfffd
	v_cndmask_b32_e64 v17, 0, 1, vcc_lo
	v_cmp_eq_u32_e32 vcc_lo, 0x40f, v19
	v_add_nc_u32_e32 v31, 0xfffffc10, v35
	v_cvt_f32_f16_e32 v8, v8
	s_delay_alu instid0(VALU_DEP_4)
	v_and_or_b32 v17, 0xffe, v34, v17
	s_wait_alu 0xfffd
	v_cndmask_b32_e32 v19, v32, v25, vcc_lo
	v_cmp_lt_i32_e32 vcc_lo, 5, v33
	v_sub_nc_u32_e32 v25, 0x3f1, v35
	v_or_b32_e32 v32, 0x1000, v17
	s_delay_alu instid0(VALU_DEP_4) | instskip(SKIP_1) | instid1(VALU_DEP_3)
	v_and_or_b32 v34, 0x8000, v26, v19
	s_or_b32 vcc_lo, s0, vcc_lo
	v_med3_i32 v25, v25, 0, 13
	s_wait_alu 0xfffe
	v_add_co_ci_u32_e32 v29, vcc_lo, 0, v29, vcc_lo
	v_cmp_ne_u32_e32 vcc_lo, 0, v1
	v_and_or_b32 v11, 0x1ff, v12, v11
	v_lshrrev_b32_e32 v33, v25, v32
	s_wait_alu 0xfffd
	v_cndmask_b32_e64 v1, 0, 1, vcc_lo
	v_cmp_gt_i32_e32 vcc_lo, 31, v30
	s_delay_alu instid0(VALU_DEP_3) | instskip(SKIP_1) | instid1(VALU_DEP_4)
	v_lshlrev_b32_e32 v19, v25, v33
	v_cvt_f64_f32_e32 v[25:26], v8
	v_lshl_or_b32 v1, v1, 9, 0x7c00
	s_wait_alu 0xfffd
	v_cndmask_b32_e32 v29, 0x7c00, v29, vcc_lo
	v_cmp_eq_u32_e32 vcc_lo, 0x40f, v30
	s_wait_alu 0xfffd
	s_delay_alu instid0(VALU_DEP_2)
	v_cndmask_b32_e32 v1, v29, v1, vcc_lo
	v_cmp_ne_u32_e32 vcc_lo, v19, v32
	v_lshrrev_b32_e32 v29, 16, v20
	v_mul_f64_e32 v[19:20], s[8:9], v[27:28]
	v_bfe_u32 v27, v12, 20, 11
	s_wait_alu 0xfffd
	v_cndmask_b32_e64 v30, 0, 1, vcc_lo
	v_cmp_ne_u32_e32 vcc_lo, 0, v11
	v_and_or_b32 v1, 0x8000, v29, v1
	v_lshl_or_b32 v29, v31, 12, v17
	v_lshrrev_b32_e32 v11, 8, v12
	v_or_b32_e32 v28, v33, v30
	v_and_b32_e32 v30, 0xffff, v34
	s_clause 0x1
	scratch_load_b32 v34, off, off offset:184 th:TH_LOAD_LU
	scratch_load_b32 v33, off, off offset:168 th:TH_LOAD_LU
	s_wait_alu 0xfffd
	v_cndmask_b32_e64 v8, 0, 1, vcc_lo
	v_cmp_gt_i32_e32 vcc_lo, 1, v31
	v_lshl_or_b32 v1, v1, 16, v30
	v_lshrrev_b32_e32 v30, 16, v10
	s_delay_alu instid0(VALU_DEP_4)
	v_and_or_b32 v8, 0xffe, v11, v8
	s_wait_alu 0xfffd
	v_cndmask_b32_e32 v28, v29, v28, vcc_lo
	v_add_co_u32 v21, vcc_lo, v23, s2
	s_wait_alu 0xfffd
	v_add_co_ci_u32_e32 v22, vcc_lo, s3, v24, vcc_lo
	s_delay_alu instid0(VALU_DEP_3)
	v_and_b32_e32 v3, 7, v28
	v_sub_nc_u32_e32 v11, 0x3f1, v27
	v_or_b32_e32 v29, 0x1000, v8
	v_add_nc_u32_e32 v27, 0xfffffc10, v27
	v_mul_f64_e32 v[23:24], s[8:9], v[25:26]
	v_cmp_lt_i32_e32 vcc_lo, 5, v3
	v_cmp_eq_u32_e64 s0, 3, v3
	v_lshrrev_b32_e32 v3, 2, v28
	v_med3_i32 v11, v11, 0, 13
	global_store_b32 v[21:22], v1, off
	s_or_b32 vcc_lo, s0, vcc_lo
	v_lshrrev_b32_e32 v5, v11, v29
	s_wait_alu 0xfffe
	v_add_co_ci_u32_e32 v3, vcc_lo, 0, v3, vcc_lo
	v_and_or_b32 v19, 0x1ff, v20, v19
	s_delay_alu instid0(VALU_DEP_3) | instskip(NEXT) | instid1(VALU_DEP_2)
	v_lshlrev_b32_e32 v11, v11, v5
	v_cmp_ne_u32_e32 vcc_lo, 0, v19
	s_delay_alu instid0(VALU_DEP_2)
	v_cmp_ne_u32_e64 s1, v11, v29
	v_bfe_u32 v29, v20, 20, 11
	s_wait_alu 0xfffd
	v_cndmask_b32_e64 v19, 0, 1, vcc_lo
	v_cmp_gt_i32_e32 vcc_lo, 1, v27
	s_wait_alu 0xf1ff
	v_cndmask_b32_e64 v11, 0, 1, s1
	v_cmp_eq_u32_e64 s1, 0x40f, v31
	s_delay_alu instid0(VALU_DEP_2) | instskip(SKIP_2) | instid1(VALU_DEP_1)
	v_or_b32_e32 v5, v5, v11
	v_lshl_or_b32 v11, v27, 12, v8
	s_wait_alu 0xfffd
	v_cndmask_b32_e32 v5, v11, v5, vcc_lo
	v_cmp_ne_u32_e32 vcc_lo, 0, v17
	v_sub_nc_u32_e32 v17, 0x3f1, v29
	v_add_nc_u32_e32 v29, 0xfffffc10, v29
	s_wait_alu 0xfffd
	v_cndmask_b32_e64 v11, 0, 1, vcc_lo
	v_cmp_gt_i32_e32 vcc_lo, 31, v31
	v_med3_i32 v17, v17, 0, 13
	v_lshrrev_b32_e32 v31, 16, v18
	s_delay_alu instid0(VALU_DEP_4) | instskip(SKIP_3) | instid1(VALU_DEP_1)
	v_lshl_or_b32 v11, v11, 9, 0x7c00
	s_wait_alu 0xfffd
	v_cndmask_b32_e32 v3, 0x7c00, v3, vcc_lo
	s_wait_alu 0xf1ff
	v_cndmask_b32_e64 v3, v3, v11, s1
	v_cmp_eq_u32_e64 s1, 0x40f, v29
	s_delay_alu instid0(VALU_DEP_2) | instskip(NEXT) | instid1(VALU_DEP_1)
	v_and_or_b32 v1, 0x8000, v31, v3
	v_and_b32_e32 v1, 0xffff, v1
	s_wait_loadcnt 0x1
	v_mul_f16_e32 v28, v34, v30
	s_wait_loadcnt 0x0
	s_delay_alu instid0(VALU_DEP_1)
	v_fmac_f16_e32 v28, v33, v10
	v_mul_f16_e32 v10, v34, v10
	scratch_load_b32 v34, off, off offset:176 th:TH_LOAD_LU ; 4-byte Folded Reload
	v_cvt_f32_f16_e32 v25, v28
	v_fma_f16 v10, v33, v30, -v10
	scratch_load_b32 v33, off, off offset:160 th:TH_LOAD_LU ; 4-byte Folded Reload
	v_lshrrev_b32_e32 v28, 8, v20
	v_bfe_u32 v30, v24, 20, 11
	v_cvt_f64_f32_e32 v[25:26], v25
	v_cvt_f32_f16_e32 v10, v10
	v_lshrrev_b32_e32 v20, 16, v20
	v_and_or_b32 v19, 0xffe, v28, v19
	v_and_b32_e32 v28, 7, v5
	v_lshrrev_b32_e32 v5, 2, v5
	s_delay_alu instid0(VALU_DEP_3) | instskip(NEXT) | instid1(VALU_DEP_3)
	v_or_b32_e32 v32, 0x1000, v19
	v_cmp_lt_i32_e32 vcc_lo, 5, v28
	v_cmp_eq_u32_e64 s0, 3, v28
	s_delay_alu instid0(VALU_DEP_3) | instskip(NEXT) | instid1(VALU_DEP_2)
	v_lshrrev_b32_e32 v28, v17, v32
	s_or_b32 vcc_lo, s0, vcc_lo
	s_wait_alu 0xfffe
	v_add_co_ci_u32_e32 v5, vcc_lo, 0, v5, vcc_lo
	s_delay_alu instid0(VALU_DEP_2)
	v_lshlrev_b32_e32 v11, v17, v28
	v_cmp_gt_i32_e32 vcc_lo, 31, v27
	v_and_or_b32 v17, 0x1ff, v24, v23
	v_lshl_or_b32 v23, v29, 12, v19
	s_wait_alu 0xfffd
	v_cndmask_b32_e32 v5, 0x7c00, v5, vcc_lo
	v_cmp_ne_u32_e32 vcc_lo, v11, v32
	s_wait_alu 0xfffd
	v_cndmask_b32_e64 v11, 0, 1, vcc_lo
	v_cmp_ne_u32_e32 vcc_lo, 0, v8
	s_delay_alu instid0(VALU_DEP_2)
	v_or_b32_e32 v11, v28, v11
	s_wait_alu 0xfffd
	v_cndmask_b32_e64 v8, 0, 1, vcc_lo
	v_cmp_ne_u32_e32 vcc_lo, 0, v17
	v_mul_f64_e32 v[17:18], s[8:9], v[25:26]
	v_cvt_f64_f32_e32 v[25:26], v10
	v_lshrrev_b32_e32 v10, 8, v24
	v_lshl_or_b32 v8, v8, 9, 0x7c00
	s_wait_alu 0xfffd
	v_cndmask_b32_e64 v28, 0, 1, vcc_lo
	v_cmp_gt_i32_e32 vcc_lo, 1, v29
	s_delay_alu instid0(VALU_DEP_2)
	v_and_or_b32 v10, 0xffe, v10, v28
	s_wait_alu 0xfffd
	v_cndmask_b32_e32 v11, v23, v11, vcc_lo
	v_sub_nc_u32_e32 v23, 0x3f1, v30
	v_cmp_eq_u32_e32 vcc_lo, 0x40f, v27
	v_add_nc_u32_e32 v30, 0xfffffc10, v30
	v_or_b32_e32 v27, 0x1000, v10
	s_delay_alu instid0(VALU_DEP_4) | instskip(SKIP_4) | instid1(VALU_DEP_2)
	v_med3_i32 v23, v23, 0, 13
	s_wait_alu 0xfffd
	v_cndmask_b32_e32 v5, v5, v8, vcc_lo
	v_lshrrev_b32_e32 v8, 16, v12
	v_and_b32_e32 v12, 7, v11
	v_and_or_b32 v3, 0x8000, v8, v5
	v_lshrrev_b32_e32 v5, v23, v27
	s_delay_alu instid0(VALU_DEP_3)
	v_cmp_lt_i32_e32 vcc_lo, 5, v12
	v_cmp_eq_u32_e64 s0, 3, v12
	v_lshrrev_b32_e32 v8, 2, v11
	v_lshl_or_b32 v1, v3, 16, v1
	v_lshlrev_b32_e32 v23, v23, v5
	ds_load_2addr_b32 v[11:12], v130 offset0:102 offset1:119
	s_or_b32 vcc_lo, s0, vcc_lo
	s_wait_alu 0xfffe
	v_add_co_ci_u32_e32 v8, vcc_lo, 0, v8, vcc_lo
	v_cmp_ne_u32_e32 vcc_lo, v23, v27
	v_and_or_b32 v17, 0x1ff, v18, v17
	v_bfe_u32 v31, v18, 20, 11
	s_wait_alu 0xfffd
	v_cndmask_b32_e64 v23, 0, 1, vcc_lo
	v_cmp_gt_i32_e32 vcc_lo, 31, v29
	v_mul_f64_e32 v[25:26], s[8:9], v[25:26]
	v_add_nc_u32_e32 v29, 0xfffffc10, v31
	s_delay_alu instid0(VALU_DEP_4)
	v_or_b32_e32 v5, v5, v23
	s_wait_alu 0xfffd
	v_cndmask_b32_e32 v3, 0x7c00, v8, vcc_lo
	v_cmp_ne_u32_e32 vcc_lo, 0, v19
	v_lshl_or_b32 v8, v30, 12, v10
	v_lshrrev_b32_e32 v23, 8, v18
	s_wait_alu 0xfffd
	v_cndmask_b32_e64 v19, 0, 1, vcc_lo
	v_cmp_gt_i32_e32 vcc_lo, 1, v30
	s_delay_alu instid0(VALU_DEP_2)
	v_lshl_or_b32 v19, v19, 9, 0x7c00
	s_wait_alu 0xfffd
	v_cndmask_b32_e32 v5, v8, v5, vcc_lo
	v_cmp_ne_u32_e32 vcc_lo, 0, v17
	s_wait_dscnt 0x0
	v_lshrrev_b32_e32 v8, 16, v11
	v_cndmask_b32_e64 v3, v3, v19, s1
	v_and_b32_e32 v28, 7, v5
	s_wait_alu 0xfffd
	v_cndmask_b32_e64 v17, 0, 1, vcc_lo
	v_lshrrev_b32_e32 v5, 2, v5
	v_add_co_u32 v21, s1, v21, s2
	v_cmp_lt_i32_e32 vcc_lo, 5, v28
	s_delay_alu instid0(VALU_DEP_4)
	v_and_or_b32 v17, 0xffe, v23, v17
	v_sub_nc_u32_e32 v23, 0x3f1, v31
	v_cmp_eq_u32_e64 s0, 3, v28
	v_and_or_b32 v3, 0x8000, v20, v3
	s_wait_alu 0xf1ff
	v_add_co_ci_u32_e64 v22, s1, s3, v22, s1
	v_or_b32_e32 v32, 0x1000, v17
	v_med3_i32 v23, v23, 0, 13
	s_or_b32 vcc_lo, s0, vcc_lo
	v_and_b32_e32 v3, 0xffff, v3
	s_wait_alu 0xfffe
	v_add_co_ci_u32_e32 v5, vcc_lo, 0, v5, vcc_lo
	v_lshrrev_b32_e32 v19, v23, v32
	v_cmp_ne_u32_e32 vcc_lo, 0, v10
	v_and_or_b32 v25, 0x1ff, v26, v25
	v_bfe_u32 v31, v26, 20, 11
	s_delay_alu instid0(VALU_DEP_4) | instskip(SKIP_3) | instid1(VALU_DEP_2)
	v_lshlrev_b32_e32 v23, v23, v19
	s_wait_alu 0xfffd
	v_cndmask_b32_e64 v10, 0, 1, vcc_lo
	v_cmp_gt_i32_e32 vcc_lo, 31, v30
	v_lshl_or_b32 v10, v10, 9, 0x7c00
	s_wait_alu 0xfffd
	v_cndmask_b32_e32 v5, 0x7c00, v5, vcc_lo
	v_cmp_ne_u32_e32 vcc_lo, v23, v32
	scratch_load_b32 v32, off, off offset:152 th:TH_LOAD_LU ; 4-byte Folded Reload
	s_wait_alu 0xfffd
	v_cndmask_b32_e64 v23, 0, 1, vcc_lo
	v_cmp_eq_u32_e32 vcc_lo, 0x40f, v30
	v_lshrrev_b32_e32 v30, 8, v26
	v_lshrrev_b32_e32 v26, 16, v26
	s_delay_alu instid0(VALU_DEP_4)
	v_or_b32_e32 v19, v19, v23
	s_wait_alu 0xfffd
	v_cndmask_b32_e32 v5, v5, v10, vcc_lo
	v_cmp_ne_u32_e32 vcc_lo, 0, v25
	v_lshl_or_b32 v23, v29, 12, v17
	s_wait_alu 0xfffd
	v_cndmask_b32_e64 v25, 0, 1, vcc_lo
	v_cmp_gt_i32_e32 vcc_lo, 1, v29
	s_delay_alu instid0(VALU_DEP_2) | instskip(NEXT) | instid1(VALU_DEP_1)
	v_and_or_b32 v25, 0xffe, v30, v25
	v_or_b32_e32 v30, 0x1000, v25
	s_wait_loadcnt 0x2
	v_mul_f16_e32 v27, v34, v8
	s_wait_loadcnt 0x1
	s_delay_alu instid0(VALU_DEP_1) | instskip(SKIP_1) | instid1(VALU_DEP_2)
	v_fmac_f16_e32 v27, v33, v11
	v_mul_f16_e32 v11, v34, v11
	v_cvt_f32_f16_e32 v27, v27
	s_delay_alu instid0(VALU_DEP_2) | instskip(SKIP_3) | instid1(VALU_DEP_1)
	v_fma_f16 v8, v33, v8, -v11
	scratch_load_b32 v33, off, off offset:172 th:TH_LOAD_LU ; 4-byte Folded Reload
	v_cvt_f64_f32_e32 v[27:28], v27
	v_cvt_f32_f16_e32 v8, v8
	v_cvt_f64_f32_e32 v[10:11], v8
	s_wait_alu 0xfffd
	v_cndmask_b32_e32 v8, v23, v19, vcc_lo
	v_sub_nc_u32_e32 v23, 0x3f1, v31
	v_lshrrev_b32_e32 v19, 16, v24
	s_delay_alu instid0(VALU_DEP_3) | instskip(NEXT) | instid1(VALU_DEP_3)
	v_and_b32_e32 v24, 7, v8
	v_med3_i32 v23, v23, 0, 13
	v_lshrrev_b32_e32 v8, 2, v8
	s_delay_alu instid0(VALU_DEP_4) | instskip(NEXT) | instid1(VALU_DEP_4)
	v_and_or_b32 v5, 0x8000, v19, v5
	v_cmp_lt_i32_e32 vcc_lo, 5, v24
	v_cmp_eq_u32_e64 s0, 3, v24
	v_lshrrev_b32_e32 v24, v23, v30
	s_delay_alu instid0(VALU_DEP_4) | instskip(NEXT) | instid1(VALU_DEP_3)
	v_lshl_or_b32 v3, v5, 16, v3
	s_or_b32 vcc_lo, s0, vcc_lo
	s_delay_alu instid0(VALU_DEP_2)
	v_lshlrev_b32_e32 v5, v23, v24
	s_wait_alu 0xfffe
	v_add_co_ci_u32_e32 v8, vcc_lo, 0, v8, vcc_lo
	v_cmp_ne_u32_e32 vcc_lo, 0, v17
	s_wait_alu 0xfffd
	v_cndmask_b32_e64 v17, 0, 1, vcc_lo
	v_cmp_ne_u32_e32 vcc_lo, v5, v30
	s_delay_alu instid0(VALU_DEP_2)
	v_lshl_or_b32 v17, v17, 9, 0x7c00
	v_mul_f64_e32 v[19:20], s[8:9], v[27:28]
	s_wait_alu 0xfffd
	v_cndmask_b32_e64 v5, 0, 1, vcc_lo
	v_lshrrev_b32_e32 v28, 16, v7
	v_add_nc_u32_e32 v27, 0xfffffc10, v31
	v_cmp_gt_i32_e32 vcc_lo, 31, v29
	s_delay_alu instid0(VALU_DEP_4) | instskip(SKIP_1) | instid1(VALU_DEP_4)
	v_or_b32_e32 v5, v24, v5
	v_mul_f64_e32 v[23:24], s[8:9], v[10:11]
	v_lshl_or_b32 v30, v27, 12, v25
	s_wait_alu 0xfffd
	v_cndmask_b32_e32 v8, 0x7c00, v8, vcc_lo
	v_cmp_gt_i32_e32 vcc_lo, 1, v27
	s_wait_alu 0xfffd
	v_cndmask_b32_e32 v5, v30, v5, vcc_lo
	v_cmp_eq_u32_e32 vcc_lo, 0x40f, v29
	v_lshrrev_b32_e32 v29, 16, v18
	s_delay_alu instid0(VALU_DEP_3)
	v_and_b32_e32 v30, 7, v5
	s_wait_alu 0xfffd
	v_cndmask_b32_e32 v8, v8, v17, vcc_lo
	v_add_co_u32 v17, vcc_lo, v21, s2
	s_wait_alu 0xfffd
	v_add_co_ci_u32_e32 v18, vcc_lo, s3, v22, vcc_lo
	v_cmp_lt_i32_e32 vcc_lo, 5, v30
	v_cmp_eq_u32_e64 s0, 3, v30
	v_lshrrev_b32_e32 v5, 2, v5
	v_and_or_b32 v29, 0x8000, v29, v8
	s_delay_alu instid0(VALU_DEP_3) | instskip(SKIP_1) | instid1(VALU_DEP_2)
	s_or_b32 vcc_lo, s0, vcc_lo
	s_wait_alu 0xfffe
	v_add_co_ci_u32_e32 v5, vcc_lo, 0, v5, vcc_lo
	v_cmp_ne_u32_e32 vcc_lo, 0, v25
	v_and_or_b32 v19, 0x1ff, v20, v19
	v_bfe_u32 v30, v20, 20, 11
	s_wait_alu 0xfffd
	v_cndmask_b32_e64 v25, 0, 1, vcc_lo
	v_cmp_gt_i32_e32 vcc_lo, 31, v27
	v_cmp_ne_u32_e64 s1, 0, v19
	v_lshrrev_b32_e32 v19, 8, v20
	v_and_or_b32 v23, 0x1ff, v24, v23
	v_lshl_or_b32 v25, v25, 9, 0x7c00
	s_wait_alu 0xfffd
	v_cndmask_b32_e32 v5, 0x7c00, v5, vcc_lo
	s_wait_alu 0xf1ff
	v_cndmask_b32_e64 v8, 0, 1, s1
	v_cmp_eq_u32_e32 vcc_lo, 0x40f, v27
	v_lshrrev_b32_e32 v27, 8, v24
	s_delay_alu instid0(VALU_DEP_3)
	v_and_or_b32 v19, 0xffe, v19, v8
	v_sub_nc_u32_e32 v8, 0x3f1, v30
	s_wait_alu 0xfffd
	v_cndmask_b32_e32 v5, v5, v25, vcc_lo
	v_cmp_ne_u32_e32 vcc_lo, 0, v23
	v_add_nc_u32_e32 v30, 0xfffffc10, v30
	s_delay_alu instid0(VALU_DEP_3) | instskip(SKIP_3) | instid1(VALU_DEP_2)
	v_and_or_b32 v5, 0x8000, v26, v5
	s_wait_alu 0xfffd
	v_cndmask_b32_e64 v23, 0, 1, vcc_lo
	v_and_b32_e32 v26, 0xffff, v29
	v_and_or_b32 v23, 0xffe, v27, v23
	s_wait_loadcnt 0x0
	v_mul_f16_e32 v31, v33, v28
	s_delay_alu instid0(VALU_DEP_1) | instskip(SKIP_2) | instid1(VALU_DEP_3)
	v_fmac_f16_e32 v31, v32, v7
	v_mul_f16_e32 v7, v33, v7
	v_or_b32_e32 v33, 0x1000, v23
	v_cvt_f32_f16_e32 v10, v31
	s_delay_alu instid0(VALU_DEP_3) | instskip(SKIP_2) | instid1(VALU_DEP_4)
	v_fma_f16 v7, v32, v28, -v7
	v_or_b32_e32 v28, 0x1000, v19
	v_med3_i32 v31, v8, 0, 13
	v_cvt_f64_f32_e32 v[10:11], v10
	s_delay_alu instid0(VALU_DEP_4) | instskip(NEXT) | instid1(VALU_DEP_3)
	v_cvt_f32_f16_e32 v7, v7
	v_lshrrev_b32_e32 v32, v31, v28
	s_delay_alu instid0(VALU_DEP_2) | instskip(NEXT) | instid1(VALU_DEP_2)
	v_cvt_f64_f32_e32 v[7:8], v7
	v_lshlrev_b32_e32 v25, v31, v32
	v_bfe_u32 v31, v24, 20, 11
	s_delay_alu instid0(VALU_DEP_2) | instskip(SKIP_3) | instid1(VALU_DEP_2)
	v_cmp_ne_u32_e32 vcc_lo, v25, v28
	s_wait_alu 0xfffd
	v_cndmask_b32_e64 v25, 0, 1, vcc_lo
	v_cmp_gt_i32_e32 vcc_lo, 1, v30
	v_or_b32_e32 v25, v32, v25
	v_lshl_or_b32 v32, v30, 12, v19
	s_wait_alu 0xfffd
	s_delay_alu instid0(VALU_DEP_1) | instskip(SKIP_2) | instid1(VALU_DEP_1)
	v_cndmask_b32_e32 v25, v32, v25, vcc_lo
	v_mul_f64_e32 v[27:28], s[8:9], v[10:11]
	v_sub_nc_u32_e32 v10, 0x3f1, v31
	v_med3_i32 v34, v10, 0, 13
	ds_load_2addr_b32 v[10:11], v13 offset0:16 offset1:33
	global_store_b32 v[21:22], v1, off
	global_store_b32 v[17:18], v3, off
	v_lshl_or_b32 v3, v5, 16, v26
	v_and_b32_e32 v1, 7, v25
	v_lshrrev_b32_e32 v29, v34, v33
	v_mul_f64_e32 v[7:8], s[8:9], v[7:8]
	s_delay_alu instid0(VALU_DEP_3) | instskip(NEXT) | instid1(VALU_DEP_3)
	v_cmp_lt_i32_e32 vcc_lo, 5, v1
	v_lshlrev_b32_e32 v5, v34, v29
	scratch_load_b32 v34, off, off offset:164 th:TH_LOAD_LU ; 4-byte Folded Reload
	v_cmp_eq_u32_e64 s0, 3, v1
	v_lshrrev_b32_e32 v1, 2, v25
	v_add_nc_u32_e32 v25, 0xfffffc10, v31
	v_cmp_ne_u32_e64 s1, v5, v33
	scratch_load_b32 v33, off, off offset:144 th:TH_LOAD_LU ; 4-byte Folded Reload
	s_or_b32 vcc_lo, s0, vcc_lo
	s_wait_alu 0xfffe
	v_add_co_ci_u32_e32 v1, vcc_lo, 0, v1, vcc_lo
	v_cndmask_b32_e64 v5, 0, 1, s1
	v_cmp_ne_u32_e32 vcc_lo, 0, v19
	v_lshl_or_b32 v21, v25, 12, v23
	s_wait_dscnt 0x0
	v_lshrrev_b32_e32 v26, 16, v10
	v_or_b32_e32 v5, v29, v5
	s_wait_alu 0xfffd
	v_cndmask_b32_e64 v19, 0, 1, vcc_lo
	v_cmp_gt_i32_e32 vcc_lo, 1, v25
	s_delay_alu instid0(VALU_DEP_2)
	v_lshl_or_b32 v19, v19, 9, 0x7c00
	s_wait_alu 0xfffd
	v_cndmask_b32_e32 v5, v21, v5, vcc_lo
	v_and_or_b32 v21, 0x1ff, v28, v27
	v_cmp_gt_i32_e32 vcc_lo, 31, v30
	v_lshrrev_b32_e32 v31, 8, v28
	v_bfe_u32 v32, v28, 20, 11
	v_and_b32_e32 v27, 7, v5
	v_lshrrev_b32_e32 v5, 2, v5
	s_wait_alu 0xfffd
	v_cndmask_b32_e32 v1, 0x7c00, v1, vcc_lo
	v_cmp_ne_u32_e32 vcc_lo, 0, v21
	v_lshrrev_b32_e32 v28, 16, v28
	v_cmp_eq_u32_e64 s0, 3, v27
	v_and_or_b32 v7, 0x1ff, v8, v7
	s_wait_alu 0xfffd
	v_cndmask_b32_e64 v29, 0, 1, vcc_lo
	v_cmp_eq_u32_e32 vcc_lo, 0x40f, v30
	s_delay_alu instid0(VALU_DEP_2)
	v_and_or_b32 v29, 0xffe, v31, v29
	s_wait_alu 0xfffd
	v_cndmask_b32_e32 v1, v1, v19, vcc_lo
	v_cmp_lt_i32_e32 vcc_lo, 5, v27
	v_sub_nc_u32_e32 v19, 0x3f1, v32
	v_lshrrev_b32_e32 v27, 16, v20
	v_or_b32_e32 v20, 0x1000, v29
	v_add_nc_u32_e32 v32, 0xfffffc10, v32
	s_or_b32 vcc_lo, s0, vcc_lo
	v_med3_i32 v19, v19, 0, 13
	s_wait_alu 0xfffe
	v_add_co_ci_u32_e32 v5, vcc_lo, 0, v5, vcc_lo
	v_cmp_ne_u32_e32 vcc_lo, 0, v23
	v_lshrrev_b32_e32 v31, 8, v8
	v_lshrrev_b32_e32 v30, v19, v20
	v_and_or_b32 v1, 0x8000, v27, v1
	s_wait_alu 0xfffd
	v_cndmask_b32_e64 v23, 0, 1, vcc_lo
	v_cmp_gt_i32_e32 vcc_lo, 31, v25
	v_lshlrev_b32_e32 v19, v19, v30
	v_and_b32_e32 v1, 0xffff, v1
	s_delay_alu instid0(VALU_DEP_4)
	v_lshl_or_b32 v23, v23, 9, 0x7c00
	s_wait_alu 0xfffd
	v_cndmask_b32_e32 v5, 0x7c00, v5, vcc_lo
	v_cmp_ne_u32_e32 vcc_lo, 0, v7
	s_wait_alu 0xfffd
	v_cndmask_b32_e64 v7, 0, 1, vcc_lo
	v_cmp_ne_u32_e32 vcc_lo, v19, v20
	s_delay_alu instid0(VALU_DEP_2) | instskip(SKIP_3) | instid1(VALU_DEP_2)
	v_and_or_b32 v7, 0xffe, v31, v7
	s_wait_alu 0xfffd
	v_cndmask_b32_e64 v19, 0, 1, vcc_lo
	v_cmp_gt_i32_e32 vcc_lo, 1, v32
	v_or_b32_e32 v30, v30, v19
	s_wait_loadcnt 0x1
	v_mul_f16_e32 v22, v34, v26
	s_wait_loadcnt 0x0
	s_delay_alu instid0(VALU_DEP_1)
	v_fmac_f16_e32 v22, v33, v10
	v_mul_f16_e32 v10, v34, v10
	scratch_load_b32 v34, off, off offset:156 th:TH_LOAD_LU ; 4-byte Folded Reload
	v_cvt_f32_f16_e32 v22, v22
	v_fma_f16 v10, v33, v26, -v10
	v_lshl_or_b32 v33, v32, 12, v29
	v_bfe_u32 v26, v8, 20, 11
	v_lshrrev_b32_e32 v8, 16, v8
	v_cvt_f64_f32_e32 v[21:22], v22
	v_cvt_f32_f16_e32 v10, v10
	s_wait_alu 0xfffd
	v_cndmask_b32_e32 v30, v33, v30, vcc_lo
	scratch_load_b32 v33, off, off offset:136 th:TH_LOAD_LU ; 4-byte Folded Reload
	v_sub_nc_u32_e32 v31, 0x3f1, v26
	v_cmp_eq_u32_e32 vcc_lo, 0x40f, v25
	v_cvt_f64_f32_e32 v[19:20], v10
	v_or_b32_e32 v10, 0x1000, v7
	v_and_b32_e32 v25, 7, v30
	v_med3_i32 v31, v31, 0, 13
	s_wait_alu 0xfffd
	v_cndmask_b32_e32 v5, v5, v23, vcc_lo
	v_lshrrev_b32_e32 v23, 16, v24
	v_add_nc_u32_e32 v26, 0xfffffc10, v26
	v_cmp_lt_i32_e32 vcc_lo, 5, v25
	v_lshrrev_b32_e32 v24, v31, v10
	v_cmp_eq_u32_e64 s0, 3, v25
	v_and_or_b32 v5, 0x8000, v23, v5
	v_lshrrev_b32_e32 v25, 2, v30
	s_delay_alu instid0(VALU_DEP_4) | instskip(NEXT) | instid1(VALU_DEP_4)
	v_lshlrev_b32_e32 v23, v31, v24
	s_or_b32 vcc_lo, s0, vcc_lo
	s_delay_alu instid0(VALU_DEP_3) | instskip(NEXT) | instid1(VALU_DEP_2)
	v_lshl_or_b32 v1, v5, 16, v1
	v_cmp_ne_u32_e64 s1, v23, v10
	s_wait_alu 0xfffe
	v_add_co_ci_u32_e32 v23, vcc_lo, 0, v25, vcc_lo
	v_cmp_ne_u32_e32 vcc_lo, 0, v29
	v_lshrrev_b32_e32 v25, 16, v6
	s_wait_alu 0xf1ff
	v_cndmask_b32_e64 v10, 0, 1, s1
	s_wait_alu 0xfffd
	v_cndmask_b32_e64 v27, 0, 1, vcc_lo
	v_cmp_gt_i32_e32 vcc_lo, 1, v26
	s_delay_alu instid0(VALU_DEP_3) | instskip(SKIP_3) | instid1(VALU_DEP_2)
	v_or_b32_e32 v10, v24, v10
	v_lshl_or_b32 v24, v26, 12, v7
	v_mul_f64_e32 v[21:22], s[8:9], v[21:22]
	s_wait_alu 0xfffd
	v_cndmask_b32_e32 v10, v24, v10, vcc_lo
	v_cmp_gt_i32_e32 vcc_lo, 31, v32
	v_lshl_or_b32 v24, v27, 9, 0x7c00
	v_mul_f64_e32 v[19:20], s[8:9], v[19:20]
	s_delay_alu instid0(VALU_DEP_4)
	v_and_b32_e32 v27, 7, v10
	s_wait_alu 0xfffd
	v_cndmask_b32_e32 v23, 0x7c00, v23, vcc_lo
	v_cmp_eq_u32_e32 vcc_lo, 0x40f, v32
	v_lshrrev_b32_e32 v10, 2, v10
	v_cmp_eq_u32_e64 s0, 3, v27
	s_wait_alu 0xfffd
	v_cndmask_b32_e32 v30, v23, v24, vcc_lo
	v_cmp_lt_i32_e32 vcc_lo, 5, v27
	s_delay_alu instid0(VALU_DEP_3)
	s_or_b32 vcc_lo, s0, vcc_lo
	s_wait_alu 0xfffe
	v_add_co_ci_u32_e32 v10, vcc_lo, 0, v10, vcc_lo
	v_cmp_ne_u32_e32 vcc_lo, 0, v7
	s_wait_alu 0xfffd
	v_cndmask_b32_e64 v7, 0, 1, vcc_lo
	v_cmp_gt_i32_e32 vcc_lo, 31, v26
	s_delay_alu instid0(VALU_DEP_2)
	v_lshl_or_b32 v7, v7, 9, 0x7c00
	s_wait_alu 0xfffd
	v_cndmask_b32_e32 v10, 0x7c00, v10, vcc_lo
	v_cmp_eq_u32_e32 vcc_lo, 0x40f, v26
	v_and_or_b32 v26, 0x8000, v28, v30
	v_and_or_b32 v21, 0x1ff, v22, v21
	v_lshrrev_b32_e32 v27, 8, v22
	s_wait_alu 0xfffd
	v_cndmask_b32_e32 v7, v10, v7, vcc_lo
	v_add_co_u32 v17, vcc_lo, v17, s6
	v_cmp_ne_u32_e64 s1, 0, v21
	s_wait_alu 0xfffd
	v_add_co_ci_u32_e32 v18, vcc_lo, s7, v18, vcc_lo
	v_and_or_b32 v5, 0x1ff, v20, v19
	v_and_or_b32 v28, 0x8000, v8, v7
	s_wait_alu 0xf1ff
	v_cndmask_b32_e64 v21, 0, 1, s1
	v_and_b32_e32 v19, 0xffff, v26
	v_bfe_u32 v30, v20, 20, 11
	global_store_b32 v[17:18], v3, off
	v_and_or_b32 v21, 0xffe, v27, v21
	v_lshl_or_b32 v19, v28, 16, v19
	s_delay_alu instid0(VALU_DEP_2) | instskip(SKIP_4) | instid1(VALU_DEP_2)
	v_or_b32_e32 v31, 0x1000, v21
	s_wait_loadcnt 0x1
	v_mul_f16_e32 v29, v34, v25
	v_mul_f16_e32 v8, v34, v6
	s_wait_loadcnt 0x0
	v_fmac_f16_e32 v29, v33, v6
	s_delay_alu instid0(VALU_DEP_2) | instskip(NEXT) | instid1(VALU_DEP_2)
	v_fma_f16 v8, v33, v25, -v8
	v_cvt_f32_f16_e32 v23, v29
	v_bfe_u32 v29, v22, 20, 11
	s_delay_alu instid0(VALU_DEP_2) | instskip(NEXT) | instid1(VALU_DEP_2)
	v_cvt_f64_f32_e32 v[23:24], v23
	v_sub_nc_u32_e32 v27, 0x3f1, v29
	v_add_nc_u32_e32 v29, 0xfffffc10, v29
	s_delay_alu instid0(VALU_DEP_2) | instskip(NEXT) | instid1(VALU_DEP_2)
	v_med3_i32 v27, v27, 0, 13
	v_cmp_eq_u32_e64 s1, 0x40f, v29
	s_delay_alu instid0(VALU_DEP_2) | instskip(NEXT) | instid1(VALU_DEP_1)
	v_lshrrev_b32_e32 v10, v27, v31
	v_lshlrev_b32_e32 v27, v27, v10
	s_delay_alu instid0(VALU_DEP_1) | instskip(SKIP_4) | instid1(VALU_DEP_2)
	v_cmp_ne_u32_e32 vcc_lo, v27, v31
	v_lshrrev_b32_e32 v27, 8, v20
	s_wait_alu 0xfffd
	v_cndmask_b32_e64 v7, 0, 1, vcc_lo
	v_cmp_ne_u32_e32 vcc_lo, 0, v5
	v_or_b32_e32 v10, v10, v7
	s_wait_alu 0xfffd
	v_cndmask_b32_e64 v26, 0, 1, vcc_lo
	v_add_co_u32 v25, vcc_lo, v17, s2
	s_delay_alu instid0(VALU_DEP_2)
	v_and_or_b32 v31, 0xffe, v27, v26
	v_mul_f64_e32 v[5:6], s[8:9], v[23:24]
	v_sub_nc_u32_e32 v23, 0x3f1, v30
	s_wait_alu 0xfffd
	v_add_co_ci_u32_e32 v26, vcc_lo, s3, v18, vcc_lo
	v_or_b32_e32 v32, 0x1000, v31
	v_lshl_or_b32 v27, v29, 12, v21
	v_med3_i32 v33, v23, 0, 13
	v_cmp_gt_i32_e32 vcc_lo, 1, v29
	v_cvt_f32_f16_e32 v24, v8
	ds_load_2addr_b32 v[7:8], v13 offset0:186 offset1:203
	v_lshrrev_b32_e32 v34, v33, v32
	s_wait_alu 0xfffd
	v_cndmask_b32_e32 v10, v27, v10, vcc_lo
	v_add_co_u32 v27, vcc_lo, v25, s2
	s_wait_alu 0xfffd
	v_add_co_ci_u32_e32 v28, vcc_lo, s3, v26, vcc_lo
	v_lshlrev_b32_e32 v3, v33, v34
	v_and_b32_e32 v35, 7, v10
	global_store_b32 v[25:26], v1, off
	global_store_b32 v[27:28], v19, off
	scratch_load_b32 v33, off, off offset:128 th:TH_LOAD_LU ; 4-byte Folded Reload
	v_cvt_f64_f32_e32 v[23:24], v24
	v_cmp_ne_u32_e64 s0, v3, v32
	v_cmp_lt_i32_e32 vcc_lo, 5, v35
	v_lshrrev_b32_e32 v10, 2, v10
	v_add_nc_u32_e32 v19, 0xfffffc10, v30
	scratch_load_b32 v36, off, off offset:132 th:TH_LOAD_LU ; 4-byte Folded Reload
	s_wait_alu 0xf1ff
	v_cndmask_b32_e64 v3, 0, 1, s0
	v_cmp_eq_u32_e64 s0, 3, v35
	scratch_load_b32 v35, off, off offset:148 th:TH_LOAD_LU ; 4-byte Folded Reload
	s_wait_dscnt 0x0
	v_lshrrev_b32_e32 v1, 16, v7
	v_lshl_or_b32 v18, v19, 12, v31
	v_or_b32_e32 v3, v34, v3
	s_or_b32 vcc_lo, s0, vcc_lo
	s_wait_alu 0xfffe
	v_add_co_ci_u32_e32 v10, vcc_lo, 0, v10, vcc_lo
	v_cmp_gt_i32_e32 vcc_lo, 1, v19
	v_and_or_b32 v5, 0x1ff, v6, v5
	v_lshrrev_b32_e32 v26, 8, v6
	v_bfe_u32 v30, v6, 20, 11
	v_lshrrev_b32_e32 v6, 16, v6
	s_wait_alu 0xfffd
	v_cndmask_b32_e32 v3, v18, v3, vcc_lo
	v_cmp_ne_u32_e32 vcc_lo, 0, v5
	s_wait_alu 0xfffd
	v_cndmask_b32_e64 v5, 0, 1, vcc_lo
	v_cmp_ne_u32_e32 vcc_lo, 0, v21
	s_delay_alu instid0(VALU_DEP_2)
	v_and_or_b32 v5, 0xffe, v26, v5
	s_wait_alu 0xfffd
	v_cndmask_b32_e64 v21, 0, 1, vcc_lo
	v_sub_nc_u32_e32 v26, 0x3f1, v30
	v_cmp_gt_i32_e32 vcc_lo, 31, v29
	v_or_b32_e32 v32, 0x1000, v5
	s_delay_alu instid0(VALU_DEP_4) | instskip(NEXT) | instid1(VALU_DEP_4)
	v_lshl_or_b32 v21, v21, 9, 0x7c00
	v_med3_i32 v26, v26, 0, 13
	s_wait_alu 0xfffd
	v_cndmask_b32_e32 v10, 0x7c00, v10, vcc_lo
	s_delay_alu instid0(VALU_DEP_1) | instskip(NEXT) | instid1(VALU_DEP_3)
	v_cndmask_b32_e64 v10, v10, v21, s1
	v_lshrrev_b32_e32 v21, v26, v32
	s_wait_loadcnt 0x0
	v_mul_f16_e32 v17, v35, v1
	s_delay_alu instid0(VALU_DEP_1)
	v_fmac_f16_e32 v17, v33, v7
	v_mul_f16_e32 v7, v35, v7
	scratch_load_b32 v35, off, off offset:112 th:TH_LOAD_LU ; 4-byte Folded Reload
	v_cvt_f32_f16_e32 v25, v17
	v_mul_f64_e32 v[17:18], s[8:9], v[23:24]
	v_fma_f16 v1, v33, v1, -v7
	scratch_load_b32 v33, off, off offset:140 th:TH_LOAD_LU ; 4-byte Folded Reload
	v_cvt_f64_f32_e32 v[23:24], v25
	v_and_b32_e32 v25, 7, v3
	v_lshrrev_b32_e32 v3, 2, v3
	v_cvt_f32_f16_e32 v1, v1
	s_delay_alu instid0(VALU_DEP_3) | instskip(SKIP_3) | instid1(VALU_DEP_3)
	v_cmp_lt_i32_e32 vcc_lo, 5, v25
	v_cmp_eq_u32_e64 s0, 3, v25
	v_lshlrev_b32_e32 v25, v26, v21
	v_lshrrev_b32_e32 v26, 16, v22
	s_or_b32 vcc_lo, s0, vcc_lo
	s_wait_alu 0xfffe
	v_add_co_ci_u32_e32 v3, vcc_lo, 0, v3, vcc_lo
	v_cmp_gt_i32_e32 vcc_lo, 31, v19
	v_and_or_b32 v10, 0x8000, v26, v10
	s_wait_alu 0xfffd
	s_delay_alu instid0(VALU_DEP_3)
	v_cndmask_b32_e32 v3, 0x7c00, v3, vcc_lo
	v_cmp_ne_u32_e32 vcc_lo, v25, v32
	scratch_load_b32 v32, off, off offset:120 th:TH_LOAD_LU ; 4-byte Folded Reload
	v_add_nc_u32_e32 v25, 0xfffffc10, v30
	v_and_b32_e32 v10, 0xffff, v10
	s_wait_alu 0xfffd
	v_cndmask_b32_e64 v7, 0, 1, vcc_lo
	v_cmp_ne_u32_e32 vcc_lo, 0, v31
	v_lshl_or_b32 v30, v25, 12, v5
	s_delay_alu instid0(VALU_DEP_3)
	v_or_b32_e32 v7, v21, v7
	s_wait_alu 0xfffd
	v_cndmask_b32_e64 v29, 0, 1, vcc_lo
	v_cvt_f64_f32_e32 v[21:22], v1
	v_and_or_b32 v1, 0x1ff, v18, v17
	v_cmp_gt_i32_e32 vcc_lo, 1, v25
	v_mul_f64_e32 v[23:24], s[8:9], v[23:24]
	v_lshl_or_b32 v17, v29, 9, 0x7c00
	v_lshrrev_b32_e32 v29, 8, v18
	s_wait_alu 0xfffd
	v_cndmask_b32_e32 v7, v30, v7, vcc_lo
	v_cmp_ne_u32_e32 vcc_lo, 0, v1
	v_bfe_u32 v30, v18, 20, 11
	s_wait_alu 0xfffd
	v_cndmask_b32_e64 v1, 0, 1, vcc_lo
	v_cmp_eq_u32_e32 vcc_lo, 0x40f, v19
	s_delay_alu instid0(VALU_DEP_3) | instskip(SKIP_1) | instid1(VALU_DEP_4)
	v_sub_nc_u32_e32 v19, 0x3f1, v30
	v_add_nc_u32_e32 v30, 0xfffffc10, v30
	v_and_or_b32 v1, 0xffe, v29, v1
	s_wait_alu 0xfffd
	v_cndmask_b32_e32 v3, v3, v17, vcc_lo
	v_lshrrev_b32_e32 v17, 16, v20
	v_and_b32_e32 v20, 7, v7
	v_med3_i32 v19, v19, 0, 13
	v_lshrrev_b32_e32 v7, 2, v7
	v_lshrrev_b32_e32 v29, 16, v9
	v_and_or_b32 v3, 0x8000, v17, v3
	v_or_b32_e32 v17, 0x1000, v1
	v_cmp_lt_i32_e32 vcc_lo, 5, v20
	v_cmp_eq_u32_e64 s0, 3, v20
	s_delay_alu instid0(VALU_DEP_4) | instskip(NEXT) | instid1(VALU_DEP_4)
	v_lshl_or_b32 v3, v3, 16, v10
	v_lshrrev_b32_e32 v26, v19, v17
	s_delay_alu instid0(VALU_DEP_3) | instskip(SKIP_2) | instid1(VALU_DEP_2)
	s_or_b32 vcc_lo, s0, vcc_lo
	s_wait_alu 0xfffe
	v_add_co_ci_u32_e32 v7, vcc_lo, 0, v7, vcc_lo
	v_lshlrev_b32_e32 v19, v19, v26
	v_cmp_gt_i32_e32 vcc_lo, 31, v25
	v_and_or_b32 v23, 0x1ff, v24, v23
	s_wait_alu 0xfffd
	v_cndmask_b32_e32 v7, 0x7c00, v7, vcc_lo
	v_cmp_ne_u32_e32 vcc_lo, v19, v17
	v_mul_f64_e32 v[19:20], s[8:9], v[21:22]
	s_wait_alu 0xfffd
	v_cndmask_b32_e64 v17, 0, 1, vcc_lo
	v_cmp_ne_u32_e32 vcc_lo, 0, v5
	s_delay_alu instid0(VALU_DEP_2) | instskip(SKIP_4) | instid1(VALU_DEP_3)
	v_or_b32_e32 v17, v26, v17
	s_wait_alu 0xfffd
	v_cndmask_b32_e64 v5, 0, 1, vcc_lo
	v_lshl_or_b32 v26, v30, 12, v1
	v_cmp_gt_i32_e32 vcc_lo, 1, v30
	v_lshl_or_b32 v5, v5, 9, 0x7c00
	s_wait_loadcnt 0x1
	v_mul_f16_e32 v10, v33, v29
	s_wait_loadcnt 0x0
	s_delay_alu instid0(VALU_DEP_1) | instskip(NEXT) | instid1(VALU_DEP_1)
	v_fmac_f16_e32 v10, v32, v9
	v_cvt_f32_f16_e32 v10, v10
	s_delay_alu instid0(VALU_DEP_1)
	v_cvt_f64_f32_e32 v[21:22], v10
	s_wait_alu 0xfffd
	v_cndmask_b32_e32 v10, v26, v17, vcc_lo
	v_cmp_ne_u32_e32 vcc_lo, 0, v23
	v_lshrrev_b32_e32 v23, 8, v24
	v_bfe_u32 v26, v24, 20, 11
	s_delay_alu instid0(VALU_DEP_4)
	v_and_b32_e32 v31, 7, v10
	s_wait_alu 0xfffd
	v_cndmask_b32_e64 v17, 0, 1, vcc_lo
	v_cmp_eq_u32_e32 vcc_lo, 0x40f, v25
	v_lshrrev_b32_e32 v10, 2, v10
	v_cmp_eq_u32_e64 s0, 3, v31
	s_delay_alu instid0(VALU_DEP_4)
	v_and_or_b32 v23, 0xffe, v23, v17
	s_wait_alu 0xfffd
	v_cndmask_b32_e32 v5, v7, v5, vcc_lo
	v_sub_nc_u32_e32 v7, 0x3f1, v26
	v_cmp_lt_i32_e32 vcc_lo, 5, v31
	v_or_b32_e32 v17, 0x1000, v23
	s_delay_alu instid0(VALU_DEP_4) | instskip(NEXT) | instid1(VALU_DEP_4)
	v_and_or_b32 v5, 0x8000, v6, v5
	v_med3_i32 v7, v7, 0, 13
	s_or_b32 vcc_lo, s0, vcc_lo
	v_mul_f16_e32 v6, v33, v9
	s_wait_alu 0xfffe
	v_add_co_ci_u32_e32 v10, vcc_lo, 0, v10, vcc_lo
	v_lshrrev_b32_e32 v25, v7, v17
	v_cmp_gt_i32_e32 vcc_lo, 31, v30
	v_fma_f16 v6, v32, v29, -v6
	v_and_or_b32 v9, 0x1ff, v20, v19
	v_add_nc_u32_e32 v19, 0xfffffc10, v26
	v_lshlrev_b32_e32 v7, v7, v25
	s_wait_alu 0xfffd
	v_cndmask_b32_e32 v31, 0x7c00, v10, vcc_lo
	v_cmp_ne_u32_e32 vcc_lo, 0, v1
	v_cvt_f32_f16_e32 v6, v6
	v_lshrrev_b32_e32 v26, 8, v20
	v_bfe_u32 v29, v20, 20, 11
	v_and_b32_e32 v5, 0xffff, v5
	s_wait_alu 0xfffd
	v_cndmask_b32_e64 v1, 0, 1, vcc_lo
	v_cmp_ne_u32_e32 vcc_lo, v7, v17
	s_delay_alu instid0(VALU_DEP_2)
	v_lshl_or_b32 v1, v1, 9, 0x7c00
	s_wait_alu 0xfffd
	v_cndmask_b32_e64 v7, 0, 1, vcc_lo
	v_cmp_ne_u32_e32 vcc_lo, 0, v9
	v_mul_f64_e32 v[9:10], s[8:9], v[21:22]
	v_cvt_f64_f32_e32 v[21:22], v6
	s_delay_alu instid0(VALU_DEP_4) | instskip(SKIP_4) | instid1(VALU_DEP_3)
	v_or_b32_e32 v6, v25, v7
	s_wait_alu 0xfffd
	v_cndmask_b32_e64 v17, 0, 1, vcc_lo
	v_lshl_or_b32 v7, v19, 12, v23
	v_cmp_gt_i32_e32 vcc_lo, 1, v19
	v_and_or_b32 v32, 0xffe, v26, v17
	v_sub_nc_u32_e32 v17, 0x3f1, v29
	s_wait_alu 0xfffd
	v_cndmask_b32_e32 v25, v7, v6, vcc_lo
	ds_load_2addr_b32 v[6:7], v130 offset0:34 offset1:51
	v_cmp_eq_u32_e32 vcc_lo, 0x40f, v30
	v_or_b32_e32 v26, 0x1000, v32
	v_med3_i32 v33, v17, 0, 13
	v_lshrrev_b32_e32 v30, 16, v18
	s_wait_alu 0xfffd
	v_cndmask_b32_e32 v1, v31, v1, vcc_lo
	v_and_b32_e32 v31, 7, v25
	v_lshrrev_b32_e32 v34, v33, v26
	v_add_co_u32 v17, vcc_lo, v27, s2
	s_wait_alu 0xfffd
	v_add_co_ci_u32_e32 v18, vcc_lo, s3, v28, vcc_lo
	s_delay_alu instid0(VALU_DEP_3)
	v_lshlrev_b32_e32 v27, v33, v34
	v_cmp_lt_i32_e32 vcc_lo, 5, v31
	v_cmp_eq_u32_e64 s0, 3, v31
	v_lshrrev_b32_e32 v25, 2, v25
	v_add_nc_u32_e32 v28, 0xfffffc10, v29
	v_cmp_ne_u32_e64 s1, v27, v26
	v_and_or_b32 v1, 0x8000, v30, v1
	s_or_b32 vcc_lo, s0, vcc_lo
	s_wait_dscnt 0x0
	v_lshrrev_b32_e32 v27, 16, v6
	s_wait_alu 0xfffe
	v_add_co_ci_u32_e32 v29, vcc_lo, 0, v25, vcc_lo
	v_cndmask_b32_e64 v26, 0, 1, s1
	v_cmp_ne_u32_e32 vcc_lo, 0, v23
	v_mul_f16_e32 v25, v36, v27
	v_lshl_or_b32 v30, v28, 12, v32
	v_and_or_b32 v9, 0x1ff, v10, v9
	v_or_b32_e32 v26, v34, v26
	v_mul_f64_e32 v[21:22], s[8:9], v[21:22]
	s_wait_alu 0xfffd
	v_cndmask_b32_e64 v23, 0, 1, vcc_lo
	v_cmp_gt_i32_e32 vcc_lo, 1, v28
	v_fmac_f16_e32 v25, v35, v6
	v_lshrrev_b32_e32 v31, 8, v10
	v_bfe_u32 v33, v10, 20, 11
	v_lshl_or_b32 v23, v23, 9, 0x7c00
	s_wait_alu 0xfffd
	v_cndmask_b32_e32 v30, v30, v26, vcc_lo
	v_cmp_ne_u32_e32 vcc_lo, 0, v9
	v_cvt_f32_f16_e32 v25, v25
	v_lshl_or_b32 v1, v1, 16, v5
	v_mul_f16_e32 v6, v36, v6
	v_and_b32_e32 v34, 7, v30
	s_wait_alu 0xfffd
	v_cndmask_b32_e64 v9, 0, 1, vcc_lo
	v_cmp_gt_i32_e32 vcc_lo, 31, v19
	v_cvt_f64_f32_e32 v[25:26], v25
	v_lshrrev_b32_e32 v5, 2, v30
	v_cmp_eq_u32_e64 s0, 3, v34
	v_and_or_b32 v9, 0xffe, v31, v9
	s_wait_alu 0xfffd
	v_cndmask_b32_e32 v29, 0x7c00, v29, vcc_lo
	v_cmp_eq_u32_e32 vcc_lo, 0x40f, v19
	v_sub_nc_u32_e32 v31, 0x3f1, v33
	v_lshrrev_b32_e32 v10, 16, v10
	s_wait_alu 0xfffd
	v_cndmask_b32_e32 v19, v29, v23, vcc_lo
	v_cmp_lt_i32_e32 vcc_lo, 5, v34
	v_lshrrev_b32_e32 v23, 16, v24
	v_or_b32_e32 v24, 0x1000, v9
	v_med3_i32 v29, v31, 0, 13
	s_or_b32 vcc_lo, s0, vcc_lo
	s_delay_alu instid0(VALU_DEP_3)
	v_and_or_b32 v30, 0x8000, v23, v19
	s_wait_alu 0xfffe
	v_add_co_ci_u32_e32 v5, vcc_lo, 0, v5, vcc_lo
	v_lshrrev_b32_e32 v19, v29, v24
	v_cmp_ne_u32_e32 vcc_lo, 0, v32
	v_and_b32_e32 v30, 0xffff, v30
	v_bfe_u32 v34, v22, 20, 11
	s_delay_alu instid0(VALU_DEP_4) | instskip(SKIP_3) | instid1(VALU_DEP_2)
	v_lshlrev_b32_e32 v29, v29, v19
	s_wait_alu 0xfffd
	v_cndmask_b32_e64 v23, 0, 1, vcc_lo
	v_cmp_gt_i32_e32 vcc_lo, 31, v28
	v_lshl_or_b32 v32, v23, 9, 0x7c00
	s_wait_alu 0xfffd
	v_cndmask_b32_e32 v31, 0x7c00, v5, vcc_lo
	v_fma_f16 v5, v35, v27, -v6
	v_and_or_b32 v6, 0x1ff, v22, v21
	v_cmp_ne_u32_e32 vcc_lo, v29, v24
	v_add_nc_u32_e32 v27, 0xfffffc10, v33
	v_lshrrev_b32_e32 v33, 8, v22
	v_cvt_f32_f16_e32 v23, v5
	v_lshrrev_b32_e32 v22, 16, v22
	s_wait_alu 0xfffd
	v_cndmask_b32_e64 v21, 0, 1, vcc_lo
	v_cmp_ne_u32_e32 vcc_lo, 0, v6
	v_mul_f64_e32 v[5:6], s[8:9], v[25:26]
	v_cvt_f64_f32_e32 v[23:24], v23
	s_delay_alu instid0(VALU_DEP_4)
	v_or_b32_e32 v19, v19, v21
	s_wait_alu 0xfffd
	v_cndmask_b32_e64 v29, 0, 1, vcc_lo
	v_cmp_eq_u32_e32 vcc_lo, 0x40f, v28
	v_sub_nc_u32_e32 v28, 0x3f1, v34
	v_lshl_or_b32 v21, v27, 12, v9
	s_delay_alu instid0(VALU_DEP_4)
	v_and_or_b32 v26, 0xffe, v33, v29
	s_wait_alu 0xfffd
	v_cndmask_b32_e32 v25, v31, v32, vcc_lo
	v_cmp_gt_i32_e32 vcc_lo, 1, v27
	v_lshrrev_b32_e32 v29, 16, v20
	v_med3_i32 v28, v28, 0, 13
	v_or_b32_e32 v31, 0x1000, v26
	s_wait_alu 0xfffd
	v_cndmask_b32_e32 v21, v21, v19, vcc_lo
	v_add_co_u32 v19, vcc_lo, v17, s2
	s_wait_alu 0xfffd
	v_add_co_ci_u32_e32 v20, vcc_lo, s3, v18, vcc_lo
	v_and_or_b32 v25, 0x8000, v29, v25
	v_lshrrev_b32_e32 v29, v28, v31
	global_store_b32 v[17:18], v3, off
	global_store_b32 v[19:20], v1, off
	scratch_load_b32 v33, off, off offset:104 th:TH_LOAD_LU ; 4-byte Folded Reload
	v_and_b32_e32 v32, 7, v21
	v_lshrrev_b32_e32 v17, 2, v21
	v_lshlrev_b32_e32 v1, v28, v29
	v_add_nc_u32_e32 v28, 0xfffffc10, v34
	scratch_load_b32 v34, off, off offset:124 th:TH_LOAD_LU ; 4-byte Folded Reload
	v_cmp_lt_i32_e32 vcc_lo, 5, v32
	v_cmp_eq_u32_e64 s0, 3, v32
	v_cmp_ne_u32_e64 s1, v1, v31
	v_lshrrev_b32_e32 v21, 16, v12
	v_lshl_or_b32 v3, v25, 16, v30
	s_delay_alu instid0(VALU_DEP_4) | instskip(NEXT) | instid1(VALU_DEP_3)
	s_or_b32 vcc_lo, s0, vcc_lo
	v_cndmask_b32_e64 v1, 0, 1, s1
	s_wait_alu 0xfffe
	v_add_co_ci_u32_e32 v25, vcc_lo, 0, v17, vcc_lo
	v_and_or_b32 v5, 0x1ff, v6, v5
	v_cmp_gt_i32_e32 vcc_lo, 1, v28
	v_or_b32_e32 v1, v29, v1
	v_lshl_or_b32 v29, v28, 12, v26
	v_mul_f64_e32 v[17:18], s[8:9], v[23:24]
	v_cmp_eq_u32_e64 s1, 0x40f, v27
	s_wait_alu 0xfffd
	s_delay_alu instid0(VALU_DEP_3) | instskip(SKIP_2) | instid1(VALU_DEP_3)
	v_cndmask_b32_e32 v1, v29, v1, vcc_lo
	v_cmp_ne_u32_e32 vcc_lo, 0, v5
	v_lshrrev_b32_e32 v29, 8, v6
	v_and_b32_e32 v31, 7, v1
	s_wait_alu 0xfffd
	v_cndmask_b32_e64 v5, 0, 1, vcc_lo
	v_cmp_ne_u32_e32 vcc_lo, 0, v9
	v_lshrrev_b32_e32 v1, 2, v1
	v_cmp_eq_u32_e64 s0, 3, v31
	s_delay_alu instid0(VALU_DEP_4) | instskip(SKIP_3) | instid1(VALU_DEP_3)
	v_and_or_b32 v5, 0xffe, v29, v5
	s_wait_alu 0xfffd
	v_cndmask_b32_e64 v9, 0, 1, vcc_lo
	v_cmp_gt_i32_e32 vcc_lo, 31, v27
	v_or_b32_e32 v32, 0x1000, v5
	s_delay_alu instid0(VALU_DEP_3) | instskip(SKIP_4) | instid1(VALU_DEP_2)
	v_lshl_or_b32 v9, v9, 9, 0x7c00
	s_wait_alu 0xfffd
	v_cndmask_b32_e32 v25, 0x7c00, v25, vcc_lo
	v_cmp_lt_i32_e32 vcc_lo, 5, v31
	s_wait_alu 0xf1ff
	v_cndmask_b32_e64 v9, v25, v9, s1
	s_or_b32 vcc_lo, s0, vcc_lo
	s_wait_alu 0xfffe
	v_add_co_ci_u32_e32 v1, vcc_lo, 0, v1, vcc_lo
	v_cmp_gt_i32_e32 vcc_lo, 31, v28
	s_wait_alu 0xfffd
	s_delay_alu instid0(VALU_DEP_2) | instskip(SKIP_4) | instid1(VALU_DEP_1)
	v_cndmask_b32_e32 v1, 0x7c00, v1, vcc_lo
	v_and_or_b32 v17, 0x1ff, v18, v17
	v_bfe_u32 v31, v18, 20, 11
	s_wait_loadcnt 0x0
	v_mul_f16_e32 v30, v34, v21
	v_fmac_f16_e32 v30, v33, v12
	s_delay_alu instid0(VALU_DEP_1) | instskip(SKIP_2) | instid1(VALU_DEP_3)
	v_cvt_f32_f16_e32 v23, v30
	v_bfe_u32 v30, v6, 20, 11
	v_lshrrev_b32_e32 v6, 16, v6
	v_cvt_f64_f32_e32 v[23:24], v23
	s_delay_alu instid0(VALU_DEP_3) | instskip(NEXT) | instid1(VALU_DEP_1)
	v_sub_nc_u32_e32 v29, 0x3f1, v30
	v_med3_i32 v29, v29, 0, 13
	s_delay_alu instid0(VALU_DEP_1) | instskip(NEXT) | instid1(VALU_DEP_1)
	v_lshrrev_b32_e32 v25, v29, v32
	v_lshlrev_b32_e32 v27, v29, v25
	v_and_or_b32 v29, 0x8000, v10, v9
	v_mul_f16_e32 v9, v34, v12
	scratch_load_b32 v34, off, off offset:116 th:TH_LOAD_LU ; 4-byte Folded Reload
	v_add_nc_u32_e32 v12, 0xfffffc10, v30
	v_cmp_ne_u32_e32 vcc_lo, v27, v32
	v_lshrrev_b32_e32 v30, 8, v18
	v_fma_f16 v9, v33, v21, -v9
	scratch_load_b32 v33, off, off offset:96 th:TH_LOAD_LU ; 4-byte Folded Reload
	v_lshl_or_b32 v27, v12, 12, v5
	s_wait_alu 0xfffd
	v_cndmask_b32_e64 v10, 0, 1, vcc_lo
	v_cmp_ne_u32_e32 vcc_lo, 0, v26
	v_cvt_f32_f16_e32 v9, v9
	v_cmp_eq_u32_e64 s1, 0x40f, v12
	s_delay_alu instid0(VALU_DEP_4) | instskip(SKIP_4) | instid1(VALU_DEP_3)
	v_or_b32_e32 v10, v25, v10
	s_wait_alu 0xfffd
	v_cndmask_b32_e64 v21, 0, 1, vcc_lo
	v_cmp_ne_u32_e32 vcc_lo, 0, v17
	v_cvt_f64_f32_e32 v[25:26], v9
	v_lshl_or_b32 v9, v21, 9, 0x7c00
	s_wait_alu 0xfffd
	v_cndmask_b32_e64 v17, 0, 1, vcc_lo
	v_cmp_gt_i32_e32 vcc_lo, 1, v12
	v_mul_f64_e32 v[23:24], s[8:9], v[23:24]
	s_delay_alu instid0(VALU_DEP_3)
	v_and_or_b32 v17, 0xffe, v30, v17
	s_wait_alu 0xfffd
	v_cndmask_b32_e32 v21, v27, v10, vcc_lo
	v_sub_nc_u32_e32 v10, 0x3f1, v31
	v_cmp_eq_u32_e32 vcc_lo, 0x40f, v28
	v_or_b32_e32 v28, 0x1000, v17
	s_delay_alu instid0(VALU_DEP_4) | instskip(NEXT) | instid1(VALU_DEP_4)
	v_and_b32_e32 v27, 7, v21
	v_med3_i32 v30, v10, 0, 13
	s_wait_alu 0xfffd
	v_cndmask_b32_e32 v1, v1, v9, vcc_lo
	v_add_co_u32 v19, vcc_lo, v19, s2
	s_wait_alu 0xfffd
	v_add_co_ci_u32_e32 v20, vcc_lo, s3, v20, vcc_lo
	s_delay_alu instid0(VALU_DEP_3)
	v_and_or_b32 v1, 0x8000, v22, v1
	v_and_b32_e32 v22, 0xffff, v29
	v_lshrrev_b32_e32 v29, v30, v28
	v_cmp_lt_i32_e32 vcc_lo, 5, v27
	v_cmp_eq_u32_e64 s0, 3, v27
	global_store_b32 v[19:20], v3, off
	v_lshrrev_b32_e32 v3, 2, v21
	v_lshlrev_b32_e32 v21, v30, v29
	v_add_nc_u32_e32 v27, 0xfffffc10, v31
	s_or_b32 vcc_lo, s0, vcc_lo
	v_lshl_or_b32 v1, v1, 16, v22
	s_wait_alu 0xfffe
	v_add_co_ci_u32_e32 v3, vcc_lo, 0, v3, vcc_lo
	v_cmp_ne_u32_e32 vcc_lo, v21, v28
	ds_load_2addr_b32 v[9:10], v130 offset0:204 offset1:221
	s_wait_alu 0xfffd
	v_cndmask_b32_e64 v21, 0, 1, vcc_lo
	v_cmp_gt_i32_e32 vcc_lo, 31, v12
	v_and_or_b32 v23, 0x1ff, v24, v23
	s_delay_alu instid0(VALU_DEP_3)
	v_or_b32_e32 v29, v29, v21
	s_wait_alu 0xfffd
	v_cndmask_b32_e32 v3, 0x7c00, v3, vcc_lo
	v_cmp_ne_u32_e32 vcc_lo, 0, v5
	v_mul_f64_e32 v[21:22], s[8:9], v[25:26]
	v_lshl_or_b32 v25, v27, 12, v17
	v_bfe_u32 v30, v24, 20, 11
	s_wait_alu 0xfffd
	v_cndmask_b32_e64 v5, 0, 1, vcc_lo
	v_cmp_gt_i32_e32 vcc_lo, 1, v27
	s_delay_alu instid0(VALU_DEP_3)
	v_sub_nc_u32_e32 v32, 0x3f1, v30
	s_wait_dscnt 0x0
	v_lshrrev_b32_e32 v28, 16, v9
	v_lshl_or_b32 v5, v5, 9, 0x7c00
	s_wait_alu 0xfffd
	v_cndmask_b32_e32 v29, v25, v29, vcc_lo
	v_cmp_ne_u32_e32 vcc_lo, 0, v23
	v_lshrrev_b32_e32 v25, 8, v24
	v_med3_i32 v32, v32, 0, 13
	v_cndmask_b32_e64 v3, v3, v5, s1
	v_and_b32_e32 v31, 7, v29
	s_wait_alu 0xfffd
	v_cndmask_b32_e64 v23, 0, 1, vcc_lo
	v_lshrrev_b32_e32 v5, 2, v29
	v_lshrrev_b32_e32 v24, 16, v24
	v_and_or_b32 v3, 0x8000, v6, v3
	v_cmp_lt_i32_e32 vcc_lo, 5, v31
	v_and_or_b32 v23, 0xffe, v25, v23
	v_cmp_eq_u32_e64 s0, 3, v31
	s_delay_alu instid0(VALU_DEP_4) | instskip(NEXT) | instid1(VALU_DEP_3)
	v_and_b32_e32 v3, 0xffff, v3
	v_or_b32_e32 v31, 0x1000, v23
	s_delay_alu instid0(VALU_DEP_3) | instskip(SKIP_2) | instid1(VALU_DEP_2)
	s_or_b32 vcc_lo, s0, vcc_lo
	s_wait_alu 0xfffe
	v_add_co_ci_u32_e32 v5, vcc_lo, 0, v5, vcc_lo
	v_lshrrev_b32_e32 v12, v32, v31
	v_cmp_ne_u32_e32 vcc_lo, 0, v17
	s_delay_alu instid0(VALU_DEP_2) | instskip(SKIP_3) | instid1(VALU_DEP_2)
	v_lshlrev_b32_e32 v6, v32, v12
	s_wait_alu 0xfffd
	v_cndmask_b32_e64 v17, 0, 1, vcc_lo
	v_cmp_gt_i32_e32 vcc_lo, 31, v27
	v_lshl_or_b32 v17, v17, 9, 0x7c00
	s_wait_alu 0xfffd
	v_cndmask_b32_e32 v29, 0x7c00, v5, vcc_lo
	v_and_or_b32 v5, 0x1ff, v22, v21
	v_cmp_ne_u32_e32 vcc_lo, v6, v31
	v_add_nc_u32_e32 v21, 0xfffffc10, v30
	v_lshrrev_b32_e32 v30, 8, v22
	v_bfe_u32 v31, v22, 20, 11
	s_wait_alu 0xfffd
	v_cndmask_b32_e64 v6, 0, 1, vcc_lo
	v_cmp_ne_u32_e32 vcc_lo, 0, v5
	s_delay_alu instid0(VALU_DEP_2)
	v_or_b32_e32 v6, v12, v6
	s_wait_alu 0xfffd
	v_cndmask_b32_e64 v5, 0, 1, vcc_lo
	v_lshl_or_b32 v12, v21, 12, v23
	v_cmp_gt_i32_e32 vcc_lo, 1, v21
	s_wait_alu 0xfffd
	s_delay_alu instid0(VALU_DEP_2)
	v_cndmask_b32_e32 v12, v12, v6, vcc_lo
	v_cmp_eq_u32_e32 vcc_lo, 0x40f, v27
	v_lshrrev_b32_e32 v27, 16, v18
	s_wait_loadcnt 0x1
	v_mul_f16_e32 v26, v34, v28
	s_wait_loadcnt 0x0
	s_delay_alu instid0(VALU_DEP_1) | instskip(SKIP_1) | instid1(VALU_DEP_2)
	v_fmac_f16_e32 v26, v33, v9
	v_mul_f16_e32 v9, v34, v9
	v_cvt_f32_f16_e32 v26, v26
	s_delay_alu instid0(VALU_DEP_2) | instskip(SKIP_2) | instid1(VALU_DEP_4)
	v_fma_f16 v9, v33, v28, -v9
	v_and_or_b32 v28, 0xffe, v30, v5
	v_sub_nc_u32_e32 v5, 0x3f1, v31
	v_cvt_f64_f32_e32 v[25:26], v26
	s_delay_alu instid0(VALU_DEP_4) | instskip(NEXT) | instid1(VALU_DEP_4)
	v_cvt_f32_f16_e32 v9, v9
	v_or_b32_e32 v30, 0x1000, v28
	s_delay_alu instid0(VALU_DEP_4) | instskip(NEXT) | instid1(VALU_DEP_3)
	v_med3_i32 v32, v5, 0, 13
	v_cvt_f64_f32_e32 v[5:6], v9
	s_wait_alu 0xfffd
	v_cndmask_b32_e32 v9, v29, v17, vcc_lo
	s_delay_alu instid0(VALU_DEP_3)
	v_lshrrev_b32_e32 v33, v32, v30
	v_add_co_u32 v17, vcc_lo, v19, s2
	v_and_b32_e32 v29, 7, v12
	s_wait_alu 0xfffd
	v_add_co_ci_u32_e32 v18, vcc_lo, s3, v20, vcc_lo
	v_lshlrev_b32_e32 v19, v32, v33
	scratch_load_b32 v32, off, off offset:88 th:TH_LOAD_LU ; 4-byte Folded Reload
	v_cmp_lt_i32_e32 vcc_lo, 5, v29
	v_cmp_eq_u32_e64 s0, 3, v29
	v_lshrrev_b32_e32 v12, 2, v12
	v_cmp_ne_u32_e64 s1, v19, v30
	v_and_or_b32 v9, 0x8000, v27, v9
	v_add_nc_u32_e32 v27, 0xfffffc10, v31
	s_or_b32 vcc_lo, s0, vcc_lo
	v_lshrrev_b32_e32 v29, 16, v11
	v_cndmask_b32_e64 v19, 0, 1, s1
	s_wait_alu 0xfffe
	v_add_co_ci_u32_e32 v12, vcc_lo, 0, v12, vcc_lo
	v_cmp_ne_u32_e32 vcc_lo, 0, v23
	v_lshl_or_b32 v20, v27, 12, v28
	v_or_b32_e32 v19, v33, v19
	scratch_load_b32 v33, off, off offset:108 th:TH_LOAD_LU ; 4-byte Folded Reload
	v_lshl_or_b32 v3, v9, 16, v3
	s_wait_alu 0xfffd
	v_cndmask_b32_e64 v23, 0, 1, vcc_lo
	v_cmp_gt_i32_e32 vcc_lo, 1, v27
	v_mul_f64_e32 v[25:26], s[8:9], v[25:26]
	s_wait_alu 0xfffd
	v_cndmask_b32_e32 v30, v20, v19, vcc_lo
	v_cmp_gt_i32_e32 vcc_lo, 31, v21
	v_lshl_or_b32 v19, v23, 9, 0x7c00
	s_wait_alu 0xfffd
	s_delay_alu instid0(VALU_DEP_3) | instskip(SKIP_1) | instid1(VALU_DEP_2)
	v_dual_cndmask_b32 v12, 0x7c00, v12 :: v_dual_and_b32 v9, 7, v30
	v_cmp_eq_u32_e32 vcc_lo, 0x40f, v21
	v_cmp_eq_u32_e64 s0, 3, v9
	s_wait_alu 0xfffd
	s_delay_alu instid0(VALU_DEP_3)
	v_cndmask_b32_e32 v23, v12, v19, vcc_lo
	v_mul_f64_e32 v[19:20], s[8:9], v[5:6]
	v_cmp_lt_i32_e32 vcc_lo, 5, v9
	v_lshrrev_b32_e32 v9, 2, v30
	s_or_b32 vcc_lo, s0, vcc_lo
	s_wait_alu 0xfffe
	s_delay_alu instid0(VALU_DEP_1) | instskip(SKIP_4) | instid1(VALU_DEP_3)
	v_add_co_ci_u32_e32 v9, vcc_lo, 0, v9, vcc_lo
	v_cmp_ne_u32_e32 vcc_lo, 0, v28
	v_and_or_b32 v5, 0x1ff, v26, v25
	v_lshrrev_b32_e32 v21, 8, v26
	v_bfe_u32 v25, v26, 20, 11
	v_cmp_ne_u32_e64 s1, 0, v5
	s_wait_alu 0xf1ff
	s_delay_alu instid0(VALU_DEP_1) | instskip(SKIP_1) | instid1(VALU_DEP_2)
	v_cndmask_b32_e64 v12, 0, 1, s1
	v_and_or_b32 v19, 0x1ff, v20, v19
	v_and_or_b32 v30, 0xffe, v21, v12
	v_sub_nc_u32_e32 v12, 0x3f1, v25
	s_wait_alu 0xfffd
	v_cndmask_b32_e64 v21, 0, 1, vcc_lo
	v_cmp_gt_i32_e32 vcc_lo, 31, v27
	v_add_nc_u32_e32 v25, 0xfffffc10, v25
	v_or_b32_e32 v28, 0x1000, v30
	v_med3_i32 v12, v12, 0, 13
	v_lshl_or_b32 v21, v21, 9, 0x7c00
	s_wait_alu 0xfffd
	v_cndmask_b32_e32 v9, 0x7c00, v9, vcc_lo
	v_cmp_eq_u32_e32 vcc_lo, 0x40f, v27
	v_lshrrev_b32_e32 v27, 16, v22
	s_wait_alu 0xfffd
	s_delay_alu instid0(VALU_DEP_3) | instskip(SKIP_3) | instid1(VALU_DEP_3)
	v_cndmask_b32_e32 v9, v9, v21, vcc_lo
	v_add_co_u32 v21, vcc_lo, v17, s6
	s_wait_alu 0xfffd
	v_add_co_ci_u32_e32 v22, vcc_lo, s7, v18, vcc_lo
	v_and_or_b32 v9, 0x8000, v27, v9
	s_wait_loadcnt 0x0
	v_mul_f16_e32 v31, v33, v29
	s_delay_alu instid0(VALU_DEP_1) | instskip(SKIP_1) | instid1(VALU_DEP_2)
	v_fmac_f16_e32 v31, v32, v11
	v_mul_f16_e32 v11, v33, v11
	v_cvt_f32_f16_e32 v6, v31
	s_delay_alu instid0(VALU_DEP_2) | instskip(SKIP_2) | instid1(VALU_DEP_4)
	v_fma_f16 v11, v32, v29, -v11
	v_lshrrev_b32_e32 v29, v12, v28
	v_and_or_b32 v32, 0x8000, v24, v23
	v_cvt_f64_f32_e32 v[5:6], v6
	s_delay_alu instid0(VALU_DEP_4) | instskip(NEXT) | instid1(VALU_DEP_4)
	v_cvt_f32_f16_e32 v11, v11
	v_lshlrev_b32_e32 v31, v12, v29
	s_delay_alu instid0(VALU_DEP_2) | instskip(NEXT) | instid1(VALU_DEP_2)
	v_cvt_f64_f32_e32 v[11:12], v11
	v_cmp_ne_u32_e32 vcc_lo, v31, v28
	v_lshrrev_b32_e32 v28, 8, v20
	v_and_b32_e32 v31, 0xffff, v32
	v_bfe_u32 v32, v20, 20, 11
	s_wait_alu 0xfffd
	v_cndmask_b32_e64 v27, 0, 1, vcc_lo
	v_cmp_ne_u32_e32 vcc_lo, 0, v19
	v_lshl_or_b32 v9, v9, 16, v31
	s_delay_alu instid0(VALU_DEP_3) | instskip(SKIP_4) | instid1(VALU_DEP_3)
	v_or_b32_e32 v27, v29, v27
	s_wait_alu 0xfffd
	v_cndmask_b32_e64 v19, 0, 1, vcc_lo
	v_lshl_or_b32 v29, v25, 12, v30
	v_cmp_gt_i32_e32 vcc_lo, 1, v25
	v_and_or_b32 v19, 0xffe, v28, v19
	v_sub_nc_u32_e32 v28, 0x3f1, v32
	s_wait_alu 0xfffd
	v_cndmask_b32_e32 v29, v29, v27, vcc_lo
	v_add_co_u32 v27, vcc_lo, v21, s2
	v_or_b32_e32 v31, 0x1000, v19
	v_med3_i32 v33, v28, 0, 13
	s_wait_alu 0xfffd
	v_add_co_ci_u32_e32 v28, vcc_lo, s3, v22, vcc_lo
	v_and_b32_e32 v34, 7, v29
	s_delay_alu instid0(VALU_DEP_3) | instskip(NEXT) | instid1(VALU_DEP_2)
	v_lshrrev_b32_e32 v35, v33, v31
	v_cmp_lt_i32_e32 vcc_lo, 5, v34
	v_mul_f64_e32 v[23:24], s[8:9], v[5:6]
	ds_load_2addr_b32 v[5:6], v13 offset0:118 offset1:135
	global_store_b32 v[17:18], v1, off
	global_store_b32 v[21:22], v3, off
	;; [unrolled: 1-line block ×3, first 2 shown]
	v_lshlrev_b32_e32 v1, v33, v35
	scratch_load_b32 v33, off, off offset:100 th:TH_LOAD_LU ; 4-byte Folded Reload
	v_lshrrev_b32_e32 v9, 2, v29
	v_add_nc_u32_e32 v29, 0xfffffc10, v32
	scratch_load_b32 v32, off, off offset:80 th:TH_LOAD_LU ; 4-byte Folded Reload
	v_cmp_eq_u32_e64 s0, 3, v34
	v_mul_f64_e32 v[11:12], s[8:9], v[11:12]
	v_cmp_ne_u32_e64 s1, v1, v31
	v_lshl_or_b32 v18, v29, 12, v19
	s_delay_alu instid0(VALU_DEP_4)
	s_or_b32 vcc_lo, s0, vcc_lo
	s_wait_alu 0xfffe
	v_add_co_ci_u32_e32 v9, vcc_lo, 0, v9, vcc_lo
	v_cndmask_b32_e64 v1, 0, 1, s1
	v_cmp_ne_u32_e32 vcc_lo, 0, v30
	s_wait_dscnt 0x0
	v_lshrrev_b32_e32 v3, 16, v5
	s_delay_alu instid0(VALU_DEP_3) | instskip(SKIP_3) | instid1(VALU_DEP_2)
	v_or_b32_e32 v1, v35, v1
	s_wait_alu 0xfffd
	v_cndmask_b32_e64 v22, 0, 1, vcc_lo
	v_cmp_gt_i32_e32 vcc_lo, 1, v29
	v_lshl_or_b32 v22, v22, 9, 0x7c00
	s_wait_alu 0xfffd
	v_cndmask_b32_e32 v1, v18, v1, vcc_lo
	s_delay_alu instid0(VALU_DEP_1)
	v_and_b32_e32 v31, 7, v1
	v_lshrrev_b32_e32 v1, 2, v1
	v_and_or_b32 v21, 0x1ff, v24, v23
	v_lshrrev_b32_e32 v23, 8, v24
	v_bfe_u32 v30, v24, 20, 11
	v_cmp_eq_u32_e64 s0, 3, v31
	v_lshrrev_b32_e32 v24, 16, v24
	v_cmp_ne_u32_e32 vcc_lo, 0, v21
	v_and_or_b32 v11, 0x1ff, v12, v11
	s_wait_alu 0xfffd
	v_cndmask_b32_e64 v21, 0, 1, vcc_lo
	v_cmp_gt_i32_e32 vcc_lo, 31, v25
	s_delay_alu instid0(VALU_DEP_2)
	v_and_or_b32 v23, 0xffe, v23, v21
	s_wait_alu 0xfffd
	v_cndmask_b32_e32 v9, 0x7c00, v9, vcc_lo
	v_sub_nc_u32_e32 v21, 0x3f1, v30
	v_cmp_eq_u32_e32 vcc_lo, 0x40f, v25
	v_lshrrev_b32_e32 v25, 16, v26
	v_add_nc_u32_e32 v30, 0xfffffc10, v30
	s_delay_alu instid0(VALU_DEP_4)
	v_med3_i32 v21, v21, 0, 13
	s_wait_alu 0xfffd
	v_cndmask_b32_e32 v9, v9, v22, vcc_lo
	v_or_b32_e32 v22, 0x1000, v23
	v_cmp_lt_i32_e32 vcc_lo, 5, v31
	v_bfe_u32 v31, v12, 20, 11
	s_delay_alu instid0(VALU_DEP_4) | instskip(NEXT) | instid1(VALU_DEP_4)
	v_and_or_b32 v9, 0x8000, v25, v9
	v_lshrrev_b32_e32 v26, v21, v22
	s_or_b32 vcc_lo, s0, vcc_lo
	s_wait_alu 0xfffe
	v_add_co_ci_u32_e32 v1, vcc_lo, 0, v1, vcc_lo
	s_delay_alu instid0(VALU_DEP_2)
	v_lshlrev_b32_e32 v21, v21, v26
	v_cmp_ne_u32_e32 vcc_lo, 0, v11
	v_lshrrev_b32_e32 v11, 8, v12
	v_and_b32_e32 v9, 0xffff, v9
	s_wait_loadcnt 0x1
	v_mul_f16_e32 v17, v33, v3
	s_wait_loadcnt 0x0
	s_delay_alu instid0(VALU_DEP_1)
	v_fmac_f16_e32 v17, v32, v5
	v_mul_f16_e32 v5, v33, v5
	scratch_load_b32 v33, off, off offset:92 th:TH_LOAD_LU ; 4-byte Folded Reload
	v_cvt_f32_f16_e32 v17, v17
	v_fma_f16 v3, v32, v3, -v5
	s_wait_alu 0xfffd
	v_cndmask_b32_e64 v5, 0, 1, vcc_lo
	v_cmp_ne_u32_e32 vcc_lo, v21, v22
	v_cvt_f64_f32_e32 v[17:18], v17
	v_cvt_f32_f16_e32 v3, v3
	s_delay_alu instid0(VALU_DEP_4)
	v_and_or_b32 v5, 0xffe, v11, v5
	s_wait_alu 0xfffd
	v_cndmask_b32_e64 v32, 0, 1, vcc_lo
	v_sub_nc_u32_e32 v11, 0x3f1, v31
	v_cmp_ne_u32_e32 vcc_lo, 0, v19
	v_cvt_f64_f32_e32 v[21:22], v3
	s_delay_alu instid0(VALU_DEP_4)
	v_or_b32_e32 v3, v26, v32
	v_lshl_or_b32 v26, v30, 12, v23
	v_or_b32_e32 v32, 0x1000, v5
	v_med3_i32 v11, v11, 0, 13
	s_wait_alu 0xfffd
	v_cndmask_b32_e64 v19, 0, 1, vcc_lo
	v_cmp_gt_i32_e32 vcc_lo, 1, v30
	s_delay_alu instid0(VALU_DEP_2) | instskip(SKIP_4) | instid1(VALU_DEP_3)
	v_lshl_or_b32 v19, v19, 9, 0x7c00
	s_wait_alu 0xfffd
	v_cndmask_b32_e32 v3, v26, v3, vcc_lo
	v_lshrrev_b32_e32 v26, v11, v32
	v_cmp_gt_i32_e32 vcc_lo, 31, v29
	v_and_b32_e32 v25, 7, v3
	s_delay_alu instid0(VALU_DEP_3)
	v_lshlrev_b32_e32 v11, v11, v26
	s_wait_alu 0xfffd
	v_cndmask_b32_e32 v1, 0x7c00, v1, vcc_lo
	v_cmp_eq_u32_e32 vcc_lo, 0x40f, v29
	v_lshrrev_b32_e32 v3, 2, v3
	v_add_nc_u32_e32 v29, 0xfffffc10, v31
	v_cmp_ne_u32_e64 s0, v11, v32
	scratch_load_b32 v32, off, off offset:72 th:TH_LOAD_LU ; 4-byte Folded Reload
	s_wait_alu 0xfffd
	v_cndmask_b32_e32 v1, v1, v19, vcc_lo
	v_cmp_lt_i32_e32 vcc_lo, 5, v25
	v_lshrrev_b32_e32 v19, 16, v20
	s_wait_alu 0xf1ff
	v_cndmask_b32_e64 v11, 0, 1, s0
	v_cmp_eq_u32_e64 s0, 3, v25
	v_mul_f64_e32 v[17:18], s[8:9], v[17:18]
	v_and_or_b32 v1, 0x8000, v19, v1
	s_delay_alu instid0(VALU_DEP_3)
	s_or_b32 vcc_lo, s0, vcc_lo
	v_or_b32_e32 v11, v26, v11
	s_wait_alu 0xfffe
	v_add_co_ci_u32_e32 v3, vcc_lo, 0, v3, vcc_lo
	v_cmp_ne_u32_e32 vcc_lo, 0, v23
	v_lshl_or_b32 v19, v29, 12, v5
	v_lshl_or_b32 v1, v1, 16, v9
	s_wait_alu 0xfffd
	v_cndmask_b32_e64 v23, 0, 1, vcc_lo
	v_cmp_gt_i32_e32 vcc_lo, 1, v29
	s_wait_alu 0xfffd
	v_cndmask_b32_e32 v11, v19, v11, vcc_lo
	v_cmp_gt_i32_e32 vcc_lo, 31, v30
	v_mul_f64_e32 v[19:20], s[8:9], v[21:22]
	v_lshl_or_b32 v21, v23, 9, 0x7c00
	v_lshrrev_b32_e32 v23, 16, v8
	v_and_b32_e32 v22, 7, v11
	s_wait_alu 0xfffd
	v_cndmask_b32_e32 v3, 0x7c00, v3, vcc_lo
	v_cmp_eq_u32_e32 vcc_lo, 0x40f, v30
	v_lshrrev_b32_e32 v11, 2, v11
	s_wait_alu 0xfffd
	s_delay_alu instid0(VALU_DEP_3) | instskip(SKIP_1) | instid1(VALU_DEP_2)
	v_cndmask_b32_e32 v3, v3, v21, vcc_lo
	v_cmp_lt_i32_e32 vcc_lo, 5, v22
	v_and_or_b32 v3, 0x8000, v24, v3
	v_and_or_b32 v17, 0x1ff, v18, v17
	v_bfe_u32 v26, v18, 20, 11
	v_lshrrev_b32_e32 v25, 8, v18
	s_delay_alu instid0(VALU_DEP_4) | instskip(NEXT) | instid1(VALU_DEP_4)
	v_and_b32_e32 v3, 0xffff, v3
	v_cmp_ne_u32_e64 s0, 0, v17
	s_wait_alu 0xf1ff
	s_delay_alu instid0(VALU_DEP_1) | instskip(SKIP_2) | instid1(VALU_DEP_3)
	v_cndmask_b32_e64 v17, 0, 1, s0
	v_cmp_eq_u32_e64 s0, 3, v22
	v_sub_nc_u32_e32 v22, 0x3f1, v26
	v_and_or_b32 v17, 0xffe, v25, v17
	s_delay_alu instid0(VALU_DEP_3) | instskip(NEXT) | instid1(VALU_DEP_2)
	s_or_b32 vcc_lo, s0, vcc_lo
	v_med3_i32 v30, v22, 0, 13
	s_wait_alu 0xfffe
	v_add_co_ci_u32_e32 v11, vcc_lo, 0, v11, vcc_lo
	v_or_b32_e32 v25, 0x1000, v17
	v_cmp_ne_u32_e32 vcc_lo, 0, v5
	s_delay_alu instid0(VALU_DEP_2) | instskip(SKIP_3) | instid1(VALU_DEP_3)
	v_lshrrev_b32_e32 v31, v30, v25
	s_wait_alu 0xfffd
	v_cndmask_b32_e64 v5, 0, 1, vcc_lo
	v_cmp_gt_i32_e32 vcc_lo, 31, v29
	v_lshlrev_b32_e32 v24, v30, v31
	s_delay_alu instid0(VALU_DEP_3) | instskip(SKIP_4) | instid1(VALU_DEP_2)
	v_lshl_or_b32 v5, v5, 9, 0x7c00
	s_wait_alu 0xfffd
	v_cndmask_b32_e32 v11, 0x7c00, v11, vcc_lo
	v_cmp_eq_u32_e32 vcc_lo, 0x40f, v29
	s_wait_alu 0xfffd
	v_cndmask_b32_e32 v5, v11, v5, vcc_lo
	v_and_or_b32 v11, 0x1ff, v20, v19
	v_cmp_ne_u32_e32 vcc_lo, v24, v25
	v_add_nc_u32_e32 v25, 0xfffffc10, v26
	v_bfe_u32 v26, v20, 20, 11
	s_wait_alu 0xfffd
	v_cndmask_b32_e64 v19, 0, 1, vcc_lo
	v_cmp_ne_u32_e32 vcc_lo, 0, v11
	v_lshl_or_b32 v29, v25, 12, v17
	s_delay_alu instid0(VALU_DEP_3)
	v_or_b32_e32 v19, v31, v19
	s_wait_alu 0xfffd
	v_cndmask_b32_e64 v11, 0, 1, vcc_lo
	v_cmp_gt_i32_e32 vcc_lo, 1, v25
	s_wait_alu 0xfffd
	v_cndmask_b32_e32 v19, v29, v19, vcc_lo
	s_wait_loadcnt 0x1
	v_mul_f16_e32 v21, v33, v23
	s_wait_loadcnt 0x0
	s_delay_alu instid0(VALU_DEP_1) | instskip(SKIP_1) | instid1(VALU_DEP_2)
	v_fmac_f16_e32 v21, v32, v8
	v_mul_f16_e32 v8, v33, v8
	v_cvt_f32_f16_e32 v21, v21
	s_delay_alu instid0(VALU_DEP_2) | instskip(SKIP_2) | instid1(VALU_DEP_4)
	v_fma_f16 v8, v32, v23, -v8
	v_lshrrev_b32_e32 v23, 8, v20
	v_and_b32_e32 v32, 7, v19
	v_cvt_f64_f32_e32 v[21:22], v21
	s_delay_alu instid0(VALU_DEP_4) | instskip(NEXT) | instid1(VALU_DEP_4)
	v_cvt_f32_f16_e32 v8, v8
	v_and_or_b32 v30, 0xffe, v23, v11
	v_sub_nc_u32_e32 v11, 0x3f1, v26
	v_cmp_eq_u32_e64 s0, 3, v32
	s_delay_alu instid0(VALU_DEP_4) | instskip(NEXT) | instid1(VALU_DEP_4)
	v_cvt_f64_f32_e32 v[23:24], v8
	v_or_b32_e32 v29, 0x1000, v30
	s_delay_alu instid0(VALU_DEP_4) | instskip(SKIP_1) | instid1(VALU_DEP_2)
	v_med3_i32 v31, v11, 0, 13
	v_lshrrev_b32_e32 v8, 16, v12
	v_lshrrev_b32_e32 v33, v31, v29
	s_delay_alu instid0(VALU_DEP_2)
	v_and_or_b32 v5, 0x8000, v8, v5
	ds_load_2addr_b32 v[8:9], v14 offset0:32 offset1:49
	v_lshlrev_b32_e32 v14, v31, v33
	scratch_load_b32 v31, off, off offset:68 th:TH_LOAD_LU ; 4-byte Folded Reload
	v_lshl_or_b32 v3, v5, 16, v3
	v_lshrrev_b32_e32 v5, 2, v19
	v_add_nc_u32_e32 v19, 0xfffffc10, v26
	v_cmp_ne_u32_e64 s1, v14, v29
	s_delay_alu instid0(VALU_DEP_2) | instskip(SKIP_1) | instid1(VALU_DEP_2)
	v_lshl_or_b32 v26, v19, 12, v30
	s_wait_alu 0xf1ff
	v_cndmask_b32_e64 v14, 0, 1, s1
	s_delay_alu instid0(VALU_DEP_1)
	v_or_b32_e32 v14, v33, v14
	v_mul_f64_e32 v[11:12], s[8:9], v[21:22]
	v_add_co_u32 v21, vcc_lo, v27, s2
	s_wait_alu 0xfffd
	v_add_co_ci_u32_e32 v22, vcc_lo, s3, v28, vcc_lo
	v_cmp_lt_i32_e32 vcc_lo, 5, v32
	scratch_load_b32 v32, off, off offset:84 th:TH_LOAD_LU ; 4-byte Folded Reload
	v_mul_f64_e32 v[23:24], s[8:9], v[23:24]
	s_wait_dscnt 0x0
	v_lshrrev_b32_e32 v27, 16, v8
	s_or_b32 vcc_lo, s0, vcc_lo
	s_wait_alu 0xfffe
	v_add_co_ci_u32_e32 v5, vcc_lo, 0, v5, vcc_lo
	v_cmp_ne_u32_e32 vcc_lo, 0, v17
	s_wait_alu 0xfffd
	v_cndmask_b32_e64 v17, 0, 1, vcc_lo
	v_cmp_gt_i32_e32 vcc_lo, 31, v25
	s_delay_alu instid0(VALU_DEP_2)
	v_lshl_or_b32 v17, v17, 9, 0x7c00
	s_wait_alu 0xfffd
	v_cndmask_b32_e32 v5, 0x7c00, v5, vcc_lo
	v_cmp_gt_i32_e32 vcc_lo, 1, v19
	s_wait_alu 0xfffd
	v_cndmask_b32_e32 v14, v26, v14, vcc_lo
	v_cmp_eq_u32_e32 vcc_lo, 0x40f, v25
	v_lshrrev_b32_e32 v25, 16, v18
	s_wait_alu 0xfffd
	s_delay_alu instid0(VALU_DEP_3) | instskip(SKIP_4) | instid1(VALU_DEP_3)
	v_dual_cndmask_b32 v5, v5, v17 :: v_dual_and_b32 v28, 7, v14
	v_and_or_b32 v11, 0x1ff, v12, v11
	v_add_co_u32 v17, vcc_lo, v21, s2
	s_wait_alu 0xfffd
	v_add_co_ci_u32_e32 v18, vcc_lo, s3, v22, vcc_lo
	v_cmp_ne_u32_e64 s1, 0, v11
	v_and_or_b32 v5, 0x8000, v25, v5
	v_cmp_lt_i32_e32 vcc_lo, 5, v28
	v_cmp_eq_u32_e64 s0, 3, v28
	v_lshrrev_b32_e32 v14, 2, v14
	s_wait_alu 0xf1ff
	v_cndmask_b32_e64 v11, 0, 1, s1
	v_lshrrev_b32_e32 v28, 8, v12
	v_bfe_u32 v29, v12, 20, 11
	s_or_b32 vcc_lo, s0, vcc_lo
	v_and_or_b32 v23, 0x1ff, v24, v23
	s_wait_alu 0xfffe
	v_add_co_ci_u32_e32 v14, vcc_lo, 0, v14, vcc_lo
	v_and_or_b32 v11, 0xffe, v28, v11
	v_sub_nc_u32_e32 v28, 0x3f1, v29
	v_cmp_ne_u32_e32 vcc_lo, 0, v30
	v_add_nc_u32_e32 v29, 0xfffffc10, v29
	v_and_b32_e32 v5, 0xffff, v5
	v_or_b32_e32 v30, 0x1000, v11
	global_store_b32 v[21:22], v1, off
	global_store_b32 v[17:18], v3, off
	scratch_load_b32 v35, off, off offset:64 th:TH_LOAD_LU ; 4-byte Folded Reload
	s_wait_loadcnt 0x1
	v_mul_f16_e32 v26, v32, v27
	s_delay_alu instid0(VALU_DEP_1) | instskip(SKIP_1) | instid1(VALU_DEP_2)
	v_fmac_f16_e32 v26, v31, v8
	v_mul_f16_e32 v8, v32, v8
	v_cvt_f32_f16_e32 v25, v26
	s_delay_alu instid0(VALU_DEP_2)
	v_fma_f16 v8, v31, v27, -v8
	s_wait_alu 0xfffd
	v_cndmask_b32_e64 v27, 0, 1, vcc_lo
	v_med3_i32 v31, v28, 0, 13
	v_cmp_gt_i32_e32 vcc_lo, 31, v19
	v_cvt_f64_f32_e32 v[25:26], v25
	v_cvt_f32_f16_e32 v8, v8
	v_lshl_or_b32 v32, v27, 9, 0x7c00
	v_lshrrev_b32_e32 v33, v31, v30
	s_wait_alu 0xfffd
	v_cndmask_b32_e32 v14, 0x7c00, v14, vcc_lo
	v_cmp_eq_u32_e32 vcc_lo, 0x40f, v19
	v_cvt_f64_f32_e32 v[27:28], v8
	s_wait_alu 0xfffd
	s_delay_alu instid0(VALU_DEP_3)
	v_cndmask_b32_e32 v8, v14, v32, vcc_lo
	v_lshlrev_b32_e32 v14, v31, v33
	v_cmp_ne_u32_e32 vcc_lo, 0, v23
	v_lshrrev_b32_e32 v23, 8, v24
	v_bfe_u32 v31, v24, 20, 11
	v_lshl_or_b32 v32, v29, 12, v11
	s_wait_alu 0xfffd
	v_cndmask_b32_e64 v19, 0, 1, vcc_lo
	v_cmp_ne_u32_e32 vcc_lo, v14, v30
	v_lshrrev_b32_e32 v30, 16, v20
	s_delay_alu instid0(VALU_DEP_3)
	v_and_or_b32 v23, 0xffe, v23, v19
	s_wait_alu 0xfffd
	v_cndmask_b32_e64 v14, 0, 1, vcc_lo
	v_sub_nc_u32_e32 v19, 0x3f1, v31
	v_and_or_b32 v8, 0x8000, v30, v8
	v_cmp_gt_i32_e32 vcc_lo, 1, v29
	s_delay_alu instid0(VALU_DEP_4)
	v_or_b32_e32 v14, v33, v14
	v_or_b32_e32 v33, 0x1000, v23
	v_med3_i32 v34, v19, 0, 13
	v_lshl_or_b32 v1, v8, 16, v5
	s_wait_alu 0xfffd
	v_cndmask_b32_e32 v14, v32, v14, vcc_lo
	scratch_load_b32 v32, off, off offset:76 th:TH_LOAD_LU ; 4-byte Folded Reload
	v_add_co_u32 v17, vcc_lo, v17, s2
	s_wait_alu 0xfffd
	v_add_co_ci_u32_e32 v18, vcc_lo, s3, v18, vcc_lo
	v_mul_f64_e32 v[19:20], s[8:9], v[25:26]
	v_lshrrev_b32_e32 v25, v34, v33
	v_and_b32_e32 v3, 7, v14
	global_store_b32 v[17:18], v1, off
	v_lshrrev_b32_e32 v1, 2, v14
	v_mul_f64_e32 v[21:22], s[8:9], v[27:28]
	v_lshlrev_b32_e32 v5, v34, v25
	v_cmp_lt_i32_e32 vcc_lo, 5, v3
	v_cmp_eq_u32_e64 s0, 3, v3
	v_lshrrev_b32_e32 v28, 16, v12
	scratch_load_b32 v34, off, off offset:44 th:TH_LOAD_LU ; 4-byte Folded Reload
	v_cmp_ne_u32_e64 s1, v5, v33
	v_add_nc_u32_e32 v5, 0xfffffc10, v31
	scratch_load_b32 v31, off, off offset:56 th:TH_LOAD_LU ; 4-byte Folded Reload
	s_or_b32 vcc_lo, s0, vcc_lo
	s_wait_alu 0xfffe
	v_add_co_ci_u32_e32 v1, vcc_lo, 0, v1, vcc_lo
	v_cndmask_b32_e64 v3, 0, 1, s1
	v_cmp_ne_u32_e32 vcc_lo, 0, v11
	v_lshl_or_b32 v8, v5, 12, v23
	s_delay_alu instid0(VALU_DEP_3) | instskip(SKIP_3) | instid1(VALU_DEP_2)
	v_or_b32_e32 v3, v25, v3
	s_wait_alu 0xfffd
	v_cndmask_b32_e64 v11, 0, 1, vcc_lo
	v_cmp_gt_i32_e32 vcc_lo, 1, v5
	v_lshl_or_b32 v11, v11, 9, 0x7c00
	s_wait_alu 0xfffd
	v_cndmask_b32_e32 v3, v8, v3, vcc_lo
	v_cmp_gt_i32_e32 vcc_lo, 31, v29
	v_lshrrev_b32_e32 v8, 16, v7
	s_wait_alu 0xfffd
	s_delay_alu instid0(VALU_DEP_3)
	v_dual_cndmask_b32 v1, 0x7c00, v1 :: v_dual_and_b32 v14, 7, v3
	v_cmp_eq_u32_e32 vcc_lo, 0x40f, v29
	v_and_or_b32 v19, 0x1ff, v20, v19
	v_bfe_u32 v27, v20, 20, 11
	v_lshrrev_b32_e32 v3, 2, v3
	s_wait_alu 0xfffd
	v_cndmask_b32_e32 v1, v1, v11, vcc_lo
	v_cmp_ne_u32_e64 s0, 0, v19
	v_lshrrev_b32_e32 v19, 8, v20
	v_cmp_lt_i32_e32 vcc_lo, 5, v14
	v_and_or_b32 v21, 0x1ff, v22, v21
	v_lshrrev_b32_e32 v29, 8, v22
	s_wait_alu 0xf1ff
	v_cndmask_b32_e64 v11, 0, 1, s0
	v_cmp_eq_u32_e64 s0, 3, v14
	v_bfe_u32 v30, v22, 20, 11
	v_and_or_b32 v1, 0x8000, v28, v1
	s_delay_alu instid0(VALU_DEP_4) | instskip(SKIP_2) | instid1(VALU_DEP_3)
	v_and_or_b32 v14, 0xffe, v19, v11
	v_sub_nc_u32_e32 v11, 0x3f1, v27
	s_or_b32 vcc_lo, s0, vcc_lo
	v_and_b32_e32 v28, 0xffff, v1
	s_wait_alu 0xfffe
	v_add_co_ci_u32_e32 v3, vcc_lo, 0, v3, vcc_lo
	v_or_b32_e32 v19, 0x1000, v14
	v_med3_i32 v11, v11, 0, 13
	v_cmp_gt_i32_e32 vcc_lo, 31, v5
	s_delay_alu instid0(VALU_DEP_2) | instskip(SKIP_3) | instid1(VALU_DEP_3)
	v_lshrrev_b32_e32 v12, v11, v19
	s_wait_alu 0xfffd
	v_cndmask_b32_e32 v3, 0x7c00, v3, vcc_lo
	v_cmp_ne_u32_e32 vcc_lo, 0, v21
	v_lshlrev_b32_e32 v11, v11, v12
	s_wait_alu 0xfffd
	v_cndmask_b32_e64 v21, 0, 1, vcc_lo
	v_cmp_ne_u32_e32 vcc_lo, 0, v23
	s_delay_alu instid0(VALU_DEP_2)
	v_and_or_b32 v21, 0xffe, v29, v21
	s_wait_alu 0xfffd
	v_cndmask_b32_e64 v23, 0, 1, vcc_lo
	v_sub_nc_u32_e32 v29, 0x3f1, v30
	v_cmp_ne_u32_e32 vcc_lo, v11, v19
	v_add_nc_u32_e32 v19, 0xfffffc10, v27
	v_or_b32_e32 v27, 0x1000, v21
	v_add_nc_u32_e32 v30, 0xfffffc10, v30
	v_med3_i32 v29, v29, 0, 13
	s_wait_alu 0xfffd
	v_cndmask_b32_e64 v11, 0, 1, vcc_lo
	v_cmp_gt_i32_e32 vcc_lo, 1, v19
	v_cmp_gt_i32_e64 s1, 1, v30
	s_wait_loadcnt 0x2
	v_mul_f16_e32 v25, v32, v8
	s_wait_loadcnt 0x0
	s_delay_alu instid0(VALU_DEP_1) | instskip(SKIP_1) | instid1(VALU_DEP_2)
	v_fmac_f16_e32 v25, v31, v7
	v_mul_f16_e32 v7, v32, v7
	v_cvt_f32_f16_e32 v25, v25
	s_delay_alu instid0(VALU_DEP_2)
	v_fma_f16 v7, v31, v8, -v7
	v_or_b32_e32 v8, v12, v11
	v_lshl_or_b32 v11, v19, 12, v14
	v_lshrrev_b32_e32 v31, v29, v27
	v_lshl_or_b32 v12, v23, 9, 0x7c00
	v_cvt_f64_f32_e32 v[25:26], v25
	v_cvt_f32_f16_e32 v7, v7
	s_wait_alu 0xfffd
	v_cndmask_b32_e32 v32, v11, v8, vcc_lo
	v_cmp_eq_u32_e32 vcc_lo, 0x40f, v5
	v_lshlrev_b32_e32 v5, v29, v31
	v_lshrrev_b32_e32 v29, 16, v24
	s_delay_alu instid0(VALU_DEP_4)
	v_and_b32_e32 v33, 7, v32
	s_wait_alu 0xfffd
	v_cndmask_b32_e32 v3, v3, v12, vcc_lo
	v_cmp_ne_u32_e32 vcc_lo, v5, v27
	scratch_load_b32 v27, off, off offset:48 th:TH_LOAD_LU ; 4-byte Folded Reload
	v_cvt_f64_f32_e32 v[11:12], v7
	ds_load_2addr_b32 v[7:8], v130 offset0:136 offset1:153
	v_cmp_eq_u32_e64 s0, 3, v33
	s_wait_alu 0xfffd
	v_cndmask_b32_e64 v5, 0, 1, vcc_lo
	v_cmp_lt_i32_e32 vcc_lo, 5, v33
	v_lshrrev_b32_e32 v1, 2, v32
	v_and_or_b32 v3, 0x8000, v29, v3
	s_delay_alu instid0(VALU_DEP_4)
	v_or_b32_e32 v5, v31, v5
	s_or_b32 vcc_lo, s0, vcc_lo
	v_lshrrev_b32_e32 v31, 16, v20
	s_wait_alu 0xfffe
	v_add_co_ci_u32_e32 v1, vcc_lo, 0, v1, vcc_lo
	v_cmp_ne_u32_e32 vcc_lo, 0, v14
	v_lshl_or_b32 v3, v3, 16, v28
	s_wait_alu 0xfffd
	v_cndmask_b32_e64 v14, 0, 1, vcc_lo
	v_cmp_gt_i32_e32 vcc_lo, 31, v19
	s_wait_dscnt 0x0
	v_lshrrev_b32_e32 v29, 16, v7
	s_delay_alu instid0(VALU_DEP_3)
	v_lshl_or_b32 v14, v14, 9, 0x7c00
	s_wait_alu 0xfffd
	v_cndmask_b32_e32 v1, 0x7c00, v1, vcc_lo
	v_mul_f64_e32 v[23:24], s[8:9], v[25:26]
	v_lshl_or_b32 v25, v30, 12, v21
	v_mul_f16_e32 v26, v35, v29
	s_delay_alu instid0(VALU_DEP_2) | instskip(SKIP_1) | instid1(VALU_DEP_3)
	v_cndmask_b32_e64 v5, v25, v5, s1
	v_cmp_eq_u32_e64 s1, 0x40f, v19
	v_fmac_f16_e32 v26, v34, v7
	v_mul_f16_e32 v7, v35, v7
	s_delay_alu instid0(VALU_DEP_4)
	v_and_b32_e32 v25, 7, v5
	v_lshrrev_b32_e32 v5, 2, v5
	s_wait_alu 0xf1ff
	v_cndmask_b32_e64 v14, v1, v14, s1
	v_mul_f64_e32 v[11:12], s[8:9], v[11:12]
	v_fma_f16 v7, v34, v29, -v7
	v_cmp_lt_i32_e32 vcc_lo, 5, v25
	v_cmp_eq_u32_e64 s0, 3, v25
	v_and_or_b32 v14, 0x8000, v31, v14
	s_delay_alu instid0(VALU_DEP_4) | instskip(NEXT) | instid1(VALU_DEP_3)
	v_cvt_f32_f16_e32 v7, v7
	s_or_b32 vcc_lo, s0, vcc_lo
	s_delay_alu instid0(VALU_DEP_2) | instskip(SKIP_4) | instid1(VALU_DEP_2)
	v_and_b32_e32 v14, 0xffff, v14
	s_wait_alu 0xfffe
	v_add_co_ci_u32_e32 v1, vcc_lo, 0, v5, vcc_lo
	v_cvt_f32_f16_e32 v5, v26
	v_cmp_gt_i32_e32 vcc_lo, 31, v30
	v_cvt_f64_f32_e32 v[19:20], v5
	s_wait_alu 0xfffd
	v_cndmask_b32_e32 v5, 0x7c00, v1, vcc_lo
	v_cmp_ne_u32_e32 vcc_lo, 0, v21
	v_and_or_b32 v23, 0x1ff, v24, v23
	s_wait_alu 0xfffd
	v_cndmask_b32_e64 v21, 0, 1, vcc_lo
	v_lshrrev_b32_e32 v32, 8, v24
	v_bfe_u32 v33, v24, 20, 11
	v_cmp_ne_u32_e32 vcc_lo, 0, v23
	s_delay_alu instid0(VALU_DEP_4)
	v_lshl_or_b32 v21, v21, 9, 0x7c00
	s_wait_alu 0xfffd
	v_cndmask_b32_e64 v23, 0, 1, vcc_lo
	v_cmp_eq_u32_e32 vcc_lo, 0x40f, v30
	v_and_or_b32 v11, 0x1ff, v12, v11
	s_wait_alu 0xfffd
	v_cndmask_b32_e32 v5, v5, v21, vcc_lo
	v_lshrrev_b32_e32 v21, 16, v22
	v_add_co_u32 v17, vcc_lo, v17, s2
	s_wait_alu 0xfffd
	v_add_co_ci_u32_e32 v18, vcc_lo, s3, v18, vcc_lo
	s_delay_alu instid0(VALU_DEP_3) | instskip(NEXT) | instid1(VALU_DEP_1)
	v_and_or_b32 v5, 0x8000, v21, v5
	v_lshl_or_b32 v5, v5, 16, v14
	v_mul_f64_e32 v[19:20], s[8:9], v[19:20]
	s_wait_loadcnt 0x0
	v_mad_co_u64_u32 v[25:26], null, s4, v27, 0
	s_delay_alu instid0(VALU_DEP_1) | instskip(NEXT) | instid1(VALU_DEP_1)
	v_mov_b32_e32 v1, v26
	v_mad_co_u64_u32 v[26:27], null, s5, v27, v[1:2]
	v_and_or_b32 v1, 0xffe, v32, v23
	v_sub_nc_u32_e32 v23, 0x3f1, v33
	s_delay_alu instid0(VALU_DEP_2) | instskip(NEXT) | instid1(VALU_DEP_2)
	v_or_b32_e32 v27, 0x1000, v1
	v_med3_i32 v22, v23, 0, 13
	s_delay_alu instid0(VALU_DEP_1) | instskip(NEXT) | instid1(VALU_DEP_1)
	v_lshrrev_b32_e32 v23, v22, v27
	v_lshlrev_b32_e32 v28, v22, v23
	v_lshlrev_b64_e32 v[21:22], 2, v[25:26]
	v_lshrrev_b32_e32 v25, 8, v12
	s_delay_alu instid0(VALU_DEP_3)
	v_cmp_ne_u32_e32 vcc_lo, v28, v27
	v_add_nc_u32_e32 v27, 0xfffffc10, v33
	v_bfe_u32 v28, v12, 20, 11
	s_wait_alu 0xfffd
	v_cndmask_b32_e64 v14, 0, 1, vcc_lo
	v_cmp_ne_u32_e32 vcc_lo, 0, v11
	s_delay_alu instid0(VALU_DEP_3) | instskip(SKIP_1) | instid1(VALU_DEP_4)
	v_sub_nc_u32_e32 v29, 0x3f1, v28
	v_add_nc_u32_e32 v28, 0xfffffc10, v28
	v_or_b32_e32 v14, v23, v14
	s_wait_alu 0xfffd
	v_cndmask_b32_e64 v11, 0, 1, vcc_lo
	v_lshl_or_b32 v23, v27, 12, v1
	v_cmp_gt_i32_e32 vcc_lo, 1, v27
	v_med3_i32 v29, v29, 0, 13
	s_delay_alu instid0(VALU_DEP_4)
	v_and_or_b32 v11, 0xffe, v25, v11
	v_cvt_f64_f32_e32 v[25:26], v7
	s_wait_alu 0xfffd
	v_cndmask_b32_e32 v7, v23, v14, vcc_lo
	v_add_co_u32 v14, vcc_lo, v15, v21
	s_wait_alu 0xfffd
	v_add_co_ci_u32_e32 v15, vcc_lo, v16, v22, vcc_lo
	global_store_b32 v[17:18], v3, off
	global_store_b32 v[14:15], v5, off
	s_clause 0x1
	scratch_load_b32 v31, off, off offset:60 th:TH_LOAD_LU
	scratch_load_b32 v30, off, off offset:36 th:TH_LOAD_LU
	v_lshrrev_b32_e32 v5, 16, v10
	v_or_b32_e32 v23, 0x1000, v11
	v_and_b32_e32 v21, 7, v7
	v_lshrrev_b32_e32 v7, 2, v7
	v_lshl_or_b32 v15, v28, 12, v11
	scratch_load_b32 v33, off, off offset:32 th:TH_LOAD_LU ; 4-byte Folded Reload
	v_lshrrev_b32_e32 v16, v29, v23
	v_cmp_lt_i32_e32 vcc_lo, 5, v21
	v_cmp_eq_u32_e64 s0, 3, v21
	scratch_load_b32 v32, off, off offset:12 th:TH_LOAD_LU ; 4-byte Folded Reload
	v_lshlrev_b32_e32 v3, v29, v16
	v_bfe_u32 v29, v20, 20, 11
	s_or_b32 vcc_lo, s0, vcc_lo
	s_wait_alu 0xfffe
	v_add_co_ci_u32_e32 v7, vcc_lo, 0, v7, vcc_lo
	v_cmp_ne_u32_e64 s1, v3, v23
	v_cmp_ne_u32_e32 vcc_lo, 0, v1
	v_lshrrev_b32_e32 v23, 8, v20
	s_wait_alu 0xf1ff
	s_delay_alu instid0(VALU_DEP_3)
	v_cndmask_b32_e64 v3, 0, 1, s1
	s_wait_alu 0xfffd
	v_cndmask_b32_e64 v1, 0, 1, vcc_lo
	v_cmp_gt_i32_e32 vcc_lo, 1, v28
	s_mul_i32 s1, s5, 0xfffff9a0
	v_or_b32_e32 v3, v16, v3
	v_and_or_b32 v16, 0x1ff, v20, v19
	v_lshl_or_b32 v1, v1, 9, 0x7c00
	s_wait_alu 0xfffe
	s_sub_co_i32 s1, s1, s4
	s_wait_alu 0xfffd
	v_cndmask_b32_e32 v3, v15, v3, vcc_lo
	v_cmp_ne_u32_e32 vcc_lo, 0, v16
	s_wait_alu 0xfffd
	v_cndmask_b32_e64 v16, 0, 1, vcc_lo
	v_cmp_gt_i32_e32 vcc_lo, 31, v27
	s_wait_alu 0xfffd
	v_cndmask_b32_e32 v7, 0x7c00, v7, vcc_lo
	v_cmp_eq_u32_e32 vcc_lo, 0x40f, v27
	s_wait_alu 0xfffd
	s_delay_alu instid0(VALU_DEP_2) | instskip(SKIP_3) | instid1(VALU_DEP_1)
	v_cndmask_b32_e32 v1, v7, v1, vcc_lo
	s_wait_loadcnt 0x3
	v_mul_f16_e32 v14, v31, v5
	s_wait_loadcnt 0x2
	v_fmac_f16_e32 v14, v30, v10
	v_mul_f16_e32 v10, v31, v10
	scratch_load_b32 v31, off, off offset:52 th:TH_LOAD_LU ; 4-byte Folded Reload
	v_cvt_f32_f16_e32 v19, v14
	v_fma_f16 v5, v30, v5, -v10
	scratch_load_b32 v30, off, off offset:28 th:TH_LOAD_LU ; 4-byte Folded Reload
	v_mul_f64_e32 v[14:15], s[8:9], v[25:26]
	v_and_or_b32 v25, 0xffe, v23, v16
	v_cvt_f64_f32_e32 v[21:22], v19
	v_and_b32_e32 v19, 7, v3
	v_sub_nc_u32_e32 v16, 0x3f1, v29
	v_lshrrev_b32_e32 v3, 2, v3
	v_or_b32_e32 v7, 0x1000, v25
	v_cvt_f32_f16_e32 v5, v5
	v_cmp_lt_i32_e32 vcc_lo, 5, v19
	v_cmp_eq_u32_e64 s0, 3, v19
	v_med3_i32 v16, v16, 0, 13
	v_lshrrev_b32_e32 v10, 16, v24
	v_cvt_f64_f32_e32 v[23:24], v5
	v_add_nc_u32_e32 v26, 0xfffffc10, v29
	s_or_b32 vcc_lo, s0, vcc_lo
	v_lshrrev_b32_e32 v19, v16, v7
	s_wait_alu 0xfffe
	v_add_co_ci_u32_e32 v3, vcc_lo, 0, v3, vcc_lo
	v_cmp_ne_u32_e32 vcc_lo, 0, v11
	v_and_or_b32 v1, 0x8000, v10, v1
	v_lshlrev_b32_e32 v16, v16, v19
	v_lshl_or_b32 v10, v26, 12, v25
	s_wait_alu 0xfffd
	v_cndmask_b32_e64 v11, 0, 1, vcc_lo
	v_cmp_gt_i32_e32 vcc_lo, 31, v28
	v_and_b32_e32 v1, 0xffff, v1
	s_delay_alu instid0(VALU_DEP_3)
	v_lshl_or_b32 v5, v11, 9, 0x7c00
	s_wait_alu 0xfffd
	v_cndmask_b32_e32 v3, 0x7c00, v3, vcc_lo
	v_cmp_ne_u32_e32 vcc_lo, v16, v7
	v_mad_co_u64_u32 v[16:17], null, 0xfffff9a0, s4, v[17:18]
	s_wait_alu 0xfffd
	v_cndmask_b32_e64 v7, 0, 1, vcc_lo
	v_cmp_eq_u32_e32 vcc_lo, 0x40f, v28
	v_and_or_b32 v11, 0x1ff, v15, v14
	v_bfe_u32 v14, v15, 20, 11
	s_delay_alu instid0(VALU_DEP_4)
	v_or_b32_e32 v7, v19, v7
	s_wait_alu 0xfffd
	v_cndmask_b32_e32 v3, v3, v5, vcc_lo
	v_lshrrev_b32_e32 v5, 16, v12
	v_cmp_gt_i32_e32 vcc_lo, 1, v26
	v_mul_f64_e32 v[21:22], s[8:9], v[21:22]
	v_lshrrev_b32_e32 v12, 8, v15
	v_add_nc_u32_e32 v17, s1, v17
	v_and_or_b32 v3, 0x8000, v5, v3
	s_wait_alu 0xfffd
	v_cndmask_b32_e32 v5, v10, v7, vcc_lo
	v_cmp_ne_u32_e32 vcc_lo, 0, v11
	v_mul_f64_e32 v[18:19], s[8:9], v[23:24]
	ds_load_2addr_b32 v[10:11], v13 offset0:50 offset1:67
	v_lshl_or_b32 v1, v3, 16, v1
	v_and_b32_e32 v3, 7, v5
	s_wait_alu 0xfffd
	v_cndmask_b32_e64 v7, 0, 1, vcc_lo
	global_store_b32 v[16:17], v1, off
	v_cmp_lt_i32_e32 vcc_lo, 5, v3
	v_and_or_b32 v7, 0xffe, v12, v7
	v_sub_nc_u32_e32 v12, 0x3f1, v14
	v_cmp_eq_u32_e64 s0, 3, v3
	v_lshrrev_b32_e32 v3, 2, v5
	v_add_nc_u32_e32 v14, 0xfffffc10, v14
	v_or_b32_e32 v27, 0x1000, v7
	v_med3_i32 v12, v12, 0, 13
	s_or_b32 vcc_lo, s0, vcc_lo
	s_wait_alu 0xfffe
	v_add_co_ci_u32_e32 v3, vcc_lo, 0, v3, vcc_lo
	s_delay_alu instid0(VALU_DEP_2)
	v_lshrrev_b32_e32 v5, v12, v27
	v_cmp_gt_i32_e32 vcc_lo, 31, v26
	s_wait_dscnt 0x0
	v_lshrrev_b32_e32 v28, 16, v10
	s_wait_alu 0xfffd
	v_dual_cndmask_b32 v3, 0x7c00, v3 :: v_dual_lshlrev_b32 v12, v12, v5
	s_delay_alu instid0(VALU_DEP_1)
	v_cmp_ne_u32_e32 vcc_lo, v12, v27
	v_and_or_b32 v21, 0x1ff, v22, v21
	v_lshrrev_b32_e32 v27, 8, v22
	v_bfe_u32 v29, v22, 20, 11
	s_wait_alu 0xfffd
	v_cndmask_b32_e64 v12, 0, 1, vcc_lo
	v_cmp_ne_u32_e32 vcc_lo, 0, v25
	v_and_or_b32 v18, 0x1ff, v19, v18
	s_delay_alu instid0(VALU_DEP_3)
	v_or_b32_e32 v5, v5, v12
	s_wait_alu 0xfffd
	v_cndmask_b32_e64 v25, 0, 1, vcc_lo
	v_cmp_ne_u32_e32 vcc_lo, 0, v21
	v_lshl_or_b32 v12, v14, 12, v7
	s_wait_alu 0xfffd
	v_cndmask_b32_e64 v21, 0, 1, vcc_lo
	v_cmp_gt_i32_e32 vcc_lo, 1, v14
	s_wait_alu 0xfffd
	v_cndmask_b32_e32 v5, v12, v5, vcc_lo
	v_lshl_or_b32 v12, v25, 9, 0x7c00
	v_and_or_b32 v25, 0xffe, v27, v21
	v_sub_nc_u32_e32 v21, 0x3f1, v29
	v_cmp_eq_u32_e32 vcc_lo, 0x40f, v26
	v_and_b32_e32 v27, 7, v5
	v_lshrrev_b32_e32 v5, 2, v5
	v_lshrrev_b32_e32 v26, 16, v20
	v_med3_i32 v21, v21, 0, 13
	s_wait_alu 0xfffd
	v_cndmask_b32_e32 v3, v3, v12, vcc_lo
	v_or_b32_e32 v12, 0x1000, v25
	v_cmp_lt_i32_e32 vcc_lo, 5, v27
	v_cmp_eq_u32_e64 s0, 3, v27
	v_add_nc_u32_e32 v29, 0xfffffc10, v29
	v_and_or_b32 v1, 0x8000, v26, v3
	v_lshrrev_b32_e32 v27, v21, v12
	v_lshrrev_b32_e32 v26, 16, v6
	s_or_b32 vcc_lo, s0, vcc_lo
	s_wait_alu 0xfffe
	v_add_co_ci_u32_e32 v5, vcc_lo, 0, v5, vcc_lo
	v_lshlrev_b32_e32 v20, v21, v27
	v_cmp_ne_u32_e32 vcc_lo, 0, v18
	v_lshrrev_b32_e32 v21, 8, v19
	v_and_b32_e32 v1, 0xffff, v1
	s_wait_alu 0xfffd
	v_cndmask_b32_e64 v18, 0, 1, vcc_lo
	v_cmp_ne_u32_e32 vcc_lo, v20, v12
	s_delay_alu instid0(VALU_DEP_2)
	v_and_or_b32 v18, 0xffe, v21, v18
	s_wait_alu 0xfffd
	v_cndmask_b32_e64 v12, 0, 1, vcc_lo
	v_cmp_ne_u32_e32 vcc_lo, 0, v7
	s_wait_alu 0xfffd
	v_cndmask_b32_e64 v7, 0, 1, vcc_lo
	v_cmp_gt_i32_e32 vcc_lo, 31, v14
	s_delay_alu instid0(VALU_DEP_2)
	v_lshl_or_b32 v7, v7, 9, 0x7c00
	s_wait_alu 0xfffd
	v_cndmask_b32_e32 v5, 0x7c00, v5, vcc_lo
	v_cmp_gt_i32_e32 vcc_lo, 1, v29
	s_wait_loadcnt 0x1
	v_mul_f16_e32 v23, v31, v28
	s_wait_loadcnt 0x0
	s_delay_alu instid0(VALU_DEP_1)
	v_fmac_f16_e32 v23, v30, v10
	v_mul_f16_e32 v10, v31, v10
	scratch_load_b32 v31, off, off offset:40 th:TH_LOAD_LU ; 4-byte Folded Reload
	v_cvt_f32_f16_e32 v23, v23
	v_fma_f16 v10, v30, v28, -v10
	v_bfe_u32 v28, v19, 20, 11
	s_delay_alu instid0(VALU_DEP_3) | instskip(NEXT) | instid1(VALU_DEP_3)
	v_cvt_f64_f32_e32 v[23:24], v23
	v_cvt_f32_f16_e32 v10, v10
	s_delay_alu instid0(VALU_DEP_3) | instskip(NEXT) | instid1(VALU_DEP_2)
	v_sub_nc_u32_e32 v30, 0x3f1, v28
	v_cvt_f64_f32_e32 v[20:21], v10
	v_or_b32_e32 v10, v27, v12
	v_lshl_or_b32 v12, v29, 12, v25
	v_or_b32_e32 v27, 0x1000, v18
	v_med3_i32 v30, v30, 0, 13
	s_wait_alu 0xfffd
	s_delay_alu instid0(VALU_DEP_3) | instskip(SKIP_1) | instid1(VALU_DEP_3)
	v_cndmask_b32_e32 v10, v12, v10, vcc_lo
	v_cmp_eq_u32_e32 vcc_lo, 0x40f, v14
	v_lshrrev_b32_e32 v12, v30, v27
	s_wait_alu 0xfffd
	s_delay_alu instid0(VALU_DEP_3) | instskip(SKIP_1) | instid1(VALU_DEP_3)
	v_dual_cndmask_b32 v5, v5, v7 :: v_dual_and_b32 v14, 7, v10
	v_lshrrev_b32_e32 v7, 16, v15
	v_lshlrev_b32_e32 v15, v30, v12
	scratch_load_b32 v30, off, off offset:20 th:TH_LOAD_LU ; 4-byte Folded Reload
	v_cmp_lt_i32_e32 vcc_lo, 5, v14
	v_lshrrev_b32_e32 v10, 2, v10
	v_and_or_b32 v3, 0x8000, v7, v5
	v_cmp_ne_u32_e64 s0, v15, v27
	v_add_nc_u32_e32 v7, 0xfffffc10, v28
	s_delay_alu instid0(VALU_DEP_3) | instskip(SKIP_1) | instid1(VALU_DEP_3)
	v_lshl_or_b32 v1, v3, 16, v1
	s_wait_alu 0xf1ff
	v_cndmask_b32_e64 v5, 0, 1, s0
	v_cmp_eq_u32_e64 s0, 3, v14
	s_delay_alu instid0(VALU_DEP_2) | instskip(NEXT) | instid1(VALU_DEP_2)
	v_or_b32_e32 v5, v12, v5
	s_or_b32 vcc_lo, s0, vcc_lo
	v_mul_f64_e32 v[23:24], s[8:9], v[23:24]
	s_wait_alu 0xfffe
	v_add_co_ci_u32_e32 v10, vcc_lo, 0, v10, vcc_lo
	v_lshl_or_b32 v12, v7, 12, v18
	v_cmp_gt_i32_e32 vcc_lo, 1, v7
	v_mul_f64_e32 v[14:15], s[8:9], v[20:21]
	s_wait_alu 0xfffd
	s_delay_alu instid0(VALU_DEP_3) | instskip(SKIP_1) | instid1(VALU_DEP_2)
	v_cndmask_b32_e32 v5, v12, v5, vcc_lo
	v_cmp_ne_u32_e32 vcc_lo, 0, v25
	v_and_b32_e32 v21, 7, v5
	s_wait_alu 0xfffd
	v_cndmask_b32_e64 v12, 0, 1, vcc_lo
	v_cmp_gt_i32_e32 vcc_lo, 31, v29
	v_lshrrev_b32_e32 v5, 2, v5
	v_cmp_eq_u32_e64 s0, 3, v21
	s_delay_alu instid0(VALU_DEP_4)
	v_lshl_or_b32 v12, v12, 9, 0x7c00
	s_wait_alu 0xfffd
	v_cndmask_b32_e32 v10, 0x7c00, v10, vcc_lo
	v_cmp_lt_i32_e32 vcc_lo, 5, v21
	s_or_b32 vcc_lo, s0, vcc_lo
	s_wait_alu 0xfffe
	v_add_co_ci_u32_e32 v5, vcc_lo, 0, v5, vcc_lo
	v_cmp_ne_u32_e32 vcc_lo, 0, v18
	s_wait_alu 0xfffd
	v_cndmask_b32_e64 v18, 0, 1, vcc_lo
	v_cmp_gt_i32_e32 vcc_lo, 31, v7
	v_and_or_b32 v23, 0x1ff, v24, v23
	v_lshrrev_b32_e32 v25, 8, v24
	v_bfe_u32 v27, v24, 20, 11
	v_lshl_or_b32 v18, v18, 9, 0x7c00
	s_wait_alu 0xfffd
	v_cndmask_b32_e32 v5, 0x7c00, v5, vcc_lo
	v_cmp_ne_u32_e64 s1, 0, v23
	v_cmp_eq_u32_e32 vcc_lo, 0x40f, v29
	s_wait_alu 0xf1ff
	s_delay_alu instid0(VALU_DEP_2)
	v_cndmask_b32_e64 v23, 0, 1, s1
	s_wait_alu 0xfffd
	v_cndmask_b32_e32 v10, v10, v12, vcc_lo
	v_cmp_eq_u32_e32 vcc_lo, 0x40f, v7
	v_lshrrev_b32_e32 v12, 16, v22
	v_lshrrev_b32_e32 v7, 16, v19
	v_and_or_b32 v23, 0xffe, v25, v23
	v_sub_nc_u32_e32 v25, 0x3f1, v27
	s_wait_alu 0xfffd
	v_cndmask_b32_e32 v5, v5, v18, vcc_lo
	v_and_or_b32 v10, 0x8000, v12, v10
	v_and_or_b32 v12, 0x1ff, v15, v14
	v_or_b32_e32 v28, 0x1000, v23
	v_med3_i32 v25, v25, 0, 13
	v_and_or_b32 v7, 0x8000, v7, v5
	v_bfe_u32 v14, v15, 20, 11
	v_and_b32_e32 v10, 0xffff, v10
	s_delay_alu instid0(VALU_DEP_4) | instskip(NEXT) | instid1(VALU_DEP_2)
	v_lshrrev_b32_e32 v22, v25, v28
	v_lshl_or_b32 v7, v7, 16, v10
	s_delay_alu instid0(VALU_DEP_2) | instskip(SKIP_1) | instid1(VALU_DEP_2)
	v_lshlrev_b32_e32 v3, v25, v22
	v_add_nc_u32_e32 v25, 0xfffffc10, v27
	v_cmp_ne_u32_e32 vcc_lo, v3, v28
	s_wait_alu 0xfffd
	v_cndmask_b32_e64 v3, 0, 1, vcc_lo
	v_cmp_ne_u32_e32 vcc_lo, 0, v12
	v_lshrrev_b32_e32 v12, 8, v15
	s_delay_alu instid0(VALU_DEP_3) | instskip(SKIP_4) | instid1(VALU_DEP_2)
	v_or_b32_e32 v3, v22, v3
	s_wait_loadcnt 0x1
	v_mul_f16_e32 v20, v31, v26
	v_mul_f16_e32 v5, v31, v6
	s_wait_loadcnt 0x0
	v_fmac_f16_e32 v20, v30, v6
	s_delay_alu instid0(VALU_DEP_2)
	v_fma_f16 v5, v30, v26, -v5
	s_wait_alu 0xfffd
	v_cndmask_b32_e64 v6, 0, 1, vcc_lo
	v_cmp_gt_i32_e32 vcc_lo, 1, v25
	v_cvt_f32_f16_e32 v20, v20
	v_cvt_f32_f16_e32 v5, v5
	s_delay_alu instid0(VALU_DEP_4)
	v_and_or_b32 v26, 0xffe, v12, v6
	v_sub_nc_u32_e32 v6, 0x3f1, v14
	v_lshl_or_b32 v12, v25, 12, v23
	v_cvt_f64_f32_e32 v[20:21], v20
	v_add_nc_u32_e32 v14, 0xfffffc10, v14
	v_or_b32_e32 v22, 0x1000, v26
	v_med3_i32 v27, v6, 0, 13
	s_wait_alu 0xfffd
	v_cndmask_b32_e32 v3, v12, v3, vcc_lo
	v_add_co_u32 v12, vcc_lo, v16, s2
	s_delay_alu instid0(VALU_DEP_3) | instskip(NEXT) | instid1(VALU_DEP_3)
	v_lshrrev_b32_e32 v28, v27, v22
	v_and_b32_e32 v10, 7, v3
	v_lshrrev_b32_e32 v3, 2, v3
	s_delay_alu instid0(VALU_DEP_3) | instskip(NEXT) | instid1(VALU_DEP_3)
	v_lshlrev_b32_e32 v27, v27, v28
	v_cmp_eq_u32_e64 s0, 3, v10
	s_delay_alu instid0(VALU_DEP_2)
	v_cmp_ne_u32_e64 s1, v27, v22
	v_lshl_or_b32 v22, v14, 12, v26
	v_mul_f64_e32 v[18:19], s[8:9], v[20:21]
	v_cvt_f64_f32_e32 v[20:21], v5
	ds_load_2addr_b32 v[5:6], v13 offset0:220 offset1:237
	s_wait_alu 0xfffd
	v_add_co_ci_u32_e32 v13, vcc_lo, s3, v17, vcc_lo
	v_add_co_u32 v16, vcc_lo, v12, s2
	s_wait_alu 0xfffd
	s_delay_alu instid0(VALU_DEP_2)
	v_add_co_ci_u32_e32 v17, vcc_lo, s3, v13, vcc_lo
	v_cmp_lt_i32_e32 vcc_lo, 5, v10
	s_wait_alu 0xf1ff
	v_cndmask_b32_e64 v10, 0, 1, s1
	global_store_b32 v[12:13], v1, off
	global_store_b32 v[16:17], v7, off
	s_or_b32 vcc_lo, s0, vcc_lo
	v_or_b32_e32 v10, v28, v10
	s_wait_alu 0xfffe
	v_add_co_ci_u32_e32 v3, vcc_lo, 0, v3, vcc_lo
	v_cmp_ne_u32_e32 vcc_lo, 0, v23
	s_wait_dscnt 0x0
	v_lshrrev_b32_e32 v27, 16, v5
	s_wait_alu 0xfffd
	v_cndmask_b32_e64 v23, 0, 1, vcc_lo
	v_cmp_gt_i32_e32 vcc_lo, 1, v14
	s_delay_alu instid0(VALU_DEP_3) | instskip(SKIP_3) | instid1(VALU_DEP_3)
	v_mul_f16_e32 v28, v33, v27
	s_wait_alu 0xfffd
	v_cndmask_b32_e32 v10, v22, v10, vcc_lo
	v_cmp_gt_i32_e32 vcc_lo, 31, v25
	v_fmac_f16_e32 v28, v32, v5
	v_mul_f16_e32 v5, v33, v5
	s_delay_alu instid0(VALU_DEP_4)
	v_and_b32_e32 v29, 7, v10
	s_wait_alu 0xfffd
	v_cndmask_b32_e32 v3, 0x7c00, v3, vcc_lo
	v_cvt_f32_f16_e32 v22, v28
	v_and_or_b32 v18, 0x1ff, v19, v18
	v_mul_f64_e32 v[20:21], s[8:9], v[20:21]
	v_lshl_or_b32 v28, v23, 9, 0x7c00
	v_lshrrev_b32_e32 v30, 8, v19
	v_bfe_u32 v31, v19, 20, 11
	v_cmp_ne_u32_e32 vcc_lo, 0, v18
	v_cmp_eq_u32_e64 s0, 3, v29
	v_lshrrev_b32_e32 v10, 2, v10
	v_fma_f16 v5, v32, v27, -v5
	v_cvt_f64_f32_e32 v[22:23], v22
	s_wait_alu 0xfffd
	v_cndmask_b32_e64 v18, 0, 1, vcc_lo
	v_cmp_eq_u32_e32 vcc_lo, 0x40f, v25
	v_cvt_f32_f16_e32 v5, v5
	s_delay_alu instid0(VALU_DEP_3)
	v_and_or_b32 v18, 0xffe, v30, v18
	s_wait_alu 0xfffd
	v_cndmask_b32_e32 v3, v3, v28, vcc_lo
	v_cmp_lt_i32_e32 vcc_lo, 5, v29
	v_lshrrev_b32_e32 v28, 16, v24
	v_sub_nc_u32_e32 v24, 0x3f1, v31
	v_or_b32_e32 v29, 0x1000, v18
	s_or_b32 vcc_lo, s0, vcc_lo
	s_delay_alu instid0(VALU_DEP_3)
	v_and_or_b32 v3, 0x8000, v28, v3
	s_wait_alu 0xfffe
	v_add_co_ci_u32_e32 v10, vcc_lo, 0, v10, vcc_lo
	v_med3_i32 v30, v24, 0, 13
	v_cmp_ne_u32_e32 vcc_lo, 0, v26
	v_and_b32_e32 v3, 0xffff, v3
	s_delay_alu instid0(VALU_DEP_3) | instskip(SKIP_3) | instid1(VALU_DEP_2)
	v_lshrrev_b32_e32 v26, v30, v29
	s_wait_alu 0xfffd
	v_cndmask_b32_e64 v24, 0, 1, vcc_lo
	v_cmp_gt_i32_e32 vcc_lo, 31, v14
	v_lshl_or_b32 v27, v24, 9, 0x7c00
	s_wait_alu 0xfffd
	v_cndmask_b32_e32 v10, 0x7c00, v10, vcc_lo
	v_cvt_f64_f32_e32 v[24:25], v5
	v_lshlrev_b32_e32 v5, v30, v26
	v_cmp_eq_u32_e32 vcc_lo, 0x40f, v14
	v_and_or_b32 v14, 0x1ff, v21, v20
	v_lshrrev_b32_e32 v20, 16, v15
	s_wait_alu 0xfffd
	v_cndmask_b32_e32 v10, v10, v27, vcc_lo
	v_cmp_ne_u32_e32 vcc_lo, v5, v29
	v_lshrrev_b32_e32 v29, 8, v21
	v_add_nc_u32_e32 v27, 0xfffffc10, v31
	s_delay_alu instid0(VALU_DEP_4)
	v_and_or_b32 v10, 0x8000, v20, v10
	s_wait_alu 0xfffd
	v_cndmask_b32_e64 v5, 0, 1, vcc_lo
	v_cmp_ne_u32_e32 vcc_lo, 0, v14
	v_mul_f64_e32 v[14:15], s[8:9], v[22:23]
	v_bfe_u32 v22, v21, 20, 11
	v_lshl_or_b32 v20, v27, 12, v18
	v_or_b32_e32 v5, v26, v5
	s_wait_alu 0xfffd
	v_cndmask_b32_e64 v28, 0, 1, vcc_lo
	v_cmp_gt_i32_e32 vcc_lo, 1, v27
	v_sub_nc_u32_e32 v23, 0x3f1, v22
	v_lshl_or_b32 v1, v10, 16, v3
	v_lshrrev_b32_e32 v10, 16, v9
	v_and_or_b32 v26, 0xffe, v29, v28
	s_clause 0x1
	scratch_load_b32 v29, off, off offset:24 th:TH_LOAD_LU
	scratch_load_b32 v28, off, off offset:8 th:TH_LOAD_LU
	s_wait_alu 0xfffd
	v_cndmask_b32_e32 v5, v20, v5, vcc_lo
	v_med3_i32 v23, v23, 0, 13
	v_or_b32_e32 v20, 0x1000, v26
	v_add_co_u32 v12, vcc_lo, v16, s2
	s_delay_alu instid0(VALU_DEP_4)
	v_and_b32_e32 v3, 7, v5
	s_wait_alu 0xfffd
	v_add_co_ci_u32_e32 v13, vcc_lo, s3, v17, vcc_lo
	v_lshrrev_b32_e32 v7, v23, v20
	v_lshrrev_b32_e32 v5, 2, v5
	v_cmp_lt_i32_e32 vcc_lo, 5, v3
	v_cmp_eq_u32_e64 s0, 3, v3
	v_mul_f64_e32 v[16:17], s[8:9], v[24:25]
	v_lshlrev_b32_e32 v23, v23, v7
	v_add_nc_u32_e32 v24, 0xfffffc10, v22
	v_lshrrev_b32_e32 v21, 16, v21
	s_or_b32 vcc_lo, s0, vcc_lo
	global_store_b32 v[12:13], v1, off
	v_cmp_ne_u32_e64 s1, v23, v20
	s_wait_alu 0xfffe
	v_add_co_ci_u32_e32 v5, vcc_lo, 0, v5, vcc_lo
	v_cmp_ne_u32_e32 vcc_lo, 0, v18
	s_wait_alu 0xf1ff
	v_cndmask_b32_e64 v20, 0, 1, s1
	v_and_or_b32 v14, 0x1ff, v15, v14
	s_wait_alu 0xfffd
	v_cndmask_b32_e64 v18, 0, 1, vcc_lo
	s_delay_alu instid0(VALU_DEP_3) | instskip(SKIP_2) | instid1(VALU_DEP_4)
	v_or_b32_e32 v7, v7, v20
	v_lshl_or_b32 v20, v24, 12, v26
	v_cmp_gt_i32_e32 vcc_lo, 1, v24
	v_lshl_or_b32 v18, v18, 9, 0x7c00
	v_and_or_b32 v16, 0x1ff, v17, v16
	s_wait_loadcnt 0x1
	v_mul_f16_e32 v3, v29, v10
	s_wait_loadcnt 0x0
	s_delay_alu instid0(VALU_DEP_1) | instskip(SKIP_1) | instid1(VALU_DEP_2)
	v_fmac_f16_e32 v3, v28, v9
	v_mul_f16_e32 v9, v29, v9
	v_cvt_f32_f16_e32 v3, v3
	s_delay_alu instid0(VALU_DEP_2) | instskip(SKIP_2) | instid1(VALU_DEP_4)
	v_fma_f16 v9, v28, v10, -v9
	v_lshrrev_b32_e32 v10, 8, v17
	v_bfe_u32 v28, v17, 20, 11
	v_cvt_f64_f32_e32 v[22:23], v3
	s_wait_alu 0xfffd
	v_cndmask_b32_e32 v3, v20, v7, vcc_lo
	v_cmp_ne_u32_e32 vcc_lo, 0, v14
	v_lshrrev_b32_e32 v14, 8, v15
	v_bfe_u32 v20, v15, 20, 11
	v_sub_nc_u32_e32 v29, 0x3f1, v28
	v_and_b32_e32 v25, 7, v3
	s_wait_alu 0xfffd
	v_cndmask_b32_e64 v7, 0, 1, vcc_lo
	v_cmp_gt_i32_e32 vcc_lo, 31, v27
	v_lshrrev_b32_e32 v3, 2, v3
	v_lshrrev_b32_e32 v15, 16, v15
	v_cmp_eq_u32_e64 s0, 3, v25
	v_and_or_b32 v7, 0xffe, v14, v7
	s_wait_alu 0xfffd
	v_cndmask_b32_e32 v5, 0x7c00, v5, vcc_lo
	v_cmp_eq_u32_e32 vcc_lo, 0x40f, v27
	v_lshrrev_b32_e32 v27, 16, v19
	v_sub_nc_u32_e32 v14, 0x3f1, v20
	s_wait_alu 0xfffd
	v_dual_cndmask_b32 v5, v5, v18 :: v_dual_add_nc_u32 v20, 0xfffffc10, v20
	v_or_b32_e32 v18, 0x1000, v7
	s_delay_alu instid0(VALU_DEP_3) | instskip(SKIP_1) | instid1(VALU_DEP_4)
	v_med3_i32 v14, v14, 0, 13
	v_cmp_lt_i32_e32 vcc_lo, 5, v25
	v_and_or_b32 v5, 0x8000, v27, v5
	scratch_load_b32 v27, off, off offset:16 th:TH_LOAD_LU ; 4-byte Folded Reload
	v_lshrrev_b32_e32 v25, v14, v18
	s_or_b32 vcc_lo, s0, vcc_lo
	s_wait_alu 0xfffe
	v_add_co_ci_u32_e32 v3, vcc_lo, 0, v3, vcc_lo
	s_delay_alu instid0(VALU_DEP_2) | instskip(SKIP_3) | instid1(VALU_DEP_3)
	v_lshlrev_b32_e32 v14, v14, v25
	v_cmp_ne_u32_e32 vcc_lo, 0, v16
	s_wait_alu 0xfffd
	v_cndmask_b32_e64 v16, 0, 1, vcc_lo
	v_cmp_ne_u32_e32 vcc_lo, v14, v18
	v_cvt_f32_f16_e32 v18, v9
	s_delay_alu instid0(VALU_DEP_3)
	v_and_or_b32 v16, 0xffe, v10, v16
	s_wait_alu 0xfffd
	v_cndmask_b32_e64 v14, 0, 1, vcc_lo
	v_cmp_ne_u32_e32 vcc_lo, 0, v26
	v_mul_f64_e32 v[9:10], s[8:9], v[22:23]
	v_lshl_or_b32 v23, v20, 12, v7
	v_med3_i32 v26, v29, 0, 13
	v_or_b32_e32 v14, v25, v14
	s_wait_alu 0xfffd
	v_cndmask_b32_e64 v22, 0, 1, vcc_lo
	v_cmp_gt_i32_e32 vcc_lo, 31, v24
	v_or_b32_e32 v25, 0x1000, v16
	v_cvt_f64_f32_e32 v[18:19], v18
	s_delay_alu instid0(VALU_DEP_4)
	v_lshl_or_b32 v22, v22, 9, 0x7c00
	s_wait_alu 0xfffd
	v_cndmask_b32_e32 v3, 0x7c00, v3, vcc_lo
	v_cmp_gt_i32_e32 vcc_lo, 1, v20
	s_wait_alu 0xfffd
	v_cndmask_b32_e32 v14, v23, v14, vcc_lo
	v_lshrrev_b32_e32 v23, v26, v25
	v_cmp_eq_u32_e32 vcc_lo, 0x40f, v24
	s_delay_alu instid0(VALU_DEP_2)
	v_lshlrev_b32_e32 v24, v26, v23
	scratch_load_b32 v26, off, off th:TH_LOAD_LU ; 4-byte Folded Reload
	s_wait_alu 0xfffd
	v_cndmask_b32_e32 v3, v3, v22, vcc_lo
	v_and_b32_e32 v22, 7, v14
	v_cmp_ne_u32_e64 s0, v24, v25
	v_add_nc_u32_e32 v24, 0xfffffc10, v28
	s_delay_alu instid0(VALU_DEP_4)
	v_and_or_b32 v1, 0x8000, v21, v3
	v_and_b32_e32 v3, 0xffff, v5
	v_cmp_lt_i32_e32 vcc_lo, 5, v22
	s_wait_alu 0xf1ff
	v_cndmask_b32_e64 v5, 0, 1, s0
	v_cmp_eq_u32_e64 s0, 3, v22
	v_lshl_or_b32 v1, v1, 16, v3
	v_lshrrev_b32_e32 v3, 2, v14
	s_delay_alu instid0(VALU_DEP_4) | instskip(NEXT) | instid1(VALU_DEP_4)
	v_or_b32_e32 v5, v23, v5
	s_or_b32 vcc_lo, s0, vcc_lo
	v_lshl_or_b32 v14, v24, 12, v16
	v_and_or_b32 v9, 0x1ff, v10, v9
	s_wait_alu 0xfffe
	v_add_co_ci_u32_e32 v3, vcc_lo, 0, v3, vcc_lo
	v_cmp_ne_u32_e32 vcc_lo, 0, v7
	v_lshrrev_b32_e32 v23, 8, v10
	v_mul_f64_e32 v[18:19], s[8:9], v[18:19]
	v_bfe_u32 v25, v10, 20, 11
	s_wait_alu 0xfffd
	v_cndmask_b32_e64 v7, 0, 1, vcc_lo
	v_cmp_gt_i32_e32 vcc_lo, 1, v24
	s_delay_alu instid0(VALU_DEP_2) | instskip(SKIP_4) | instid1(VALU_DEP_3)
	v_lshl_or_b32 v7, v7, 9, 0x7c00
	s_wait_alu 0xfffd
	v_cndmask_b32_e32 v5, v14, v5, vcc_lo
	v_cmp_gt_i32_e32 vcc_lo, 31, v20
	v_lshrrev_b32_e32 v14, 16, v4
	v_and_b32_e32 v21, 7, v5
	s_wait_alu 0xfffd
	v_cndmask_b32_e32 v3, 0x7c00, v3, vcc_lo
	v_cmp_ne_u32_e32 vcc_lo, 0, v9
	v_lshrrev_b32_e32 v5, 2, v5
	v_cmp_eq_u32_e64 s0, 3, v21
	s_wait_alu 0xfffd
	v_cndmask_b32_e64 v9, 0, 1, vcc_lo
	v_cmp_eq_u32_e32 vcc_lo, 0x40f, v20
	s_wait_alu 0xfffd
	v_cndmask_b32_e32 v3, v3, v7, vcc_lo
	v_cmp_lt_i32_e32 vcc_lo, 5, v21
	v_and_or_b32 v7, 0xffe, v23, v9
	v_sub_nc_u32_e32 v9, 0x3f1, v25
	s_delay_alu instid0(VALU_DEP_4)
	v_and_or_b32 v15, 0x8000, v15, v3
	s_or_b32 vcc_lo, s0, vcc_lo
	s_wait_alu 0xfffe
	v_add_co_ci_u32_e32 v5, vcc_lo, 0, v5, vcc_lo
	v_med3_i32 v9, v9, 0, 13
	v_cmp_ne_u32_e32 vcc_lo, 0, v16
	s_wait_alu 0xfffd
	v_cndmask_b32_e64 v16, 0, 1, vcc_lo
	v_cmp_gt_i32_e32 vcc_lo, 31, v24
	s_delay_alu instid0(VALU_DEP_2) | instskip(SKIP_4) | instid1(VALU_DEP_2)
	v_lshl_or_b32 v16, v16, 9, 0x7c00
	s_wait_alu 0xfffd
	v_cndmask_b32_e32 v5, 0x7c00, v5, vcc_lo
	v_cmp_eq_u32_e32 vcc_lo, 0x40f, v24
	s_wait_alu 0xfffd
	v_cndmask_b32_e32 v5, v5, v16, vcc_lo
	s_wait_loadcnt 0x1
	v_mul_f16_e32 v22, v27, v14
	v_mul_f16_e32 v3, v27, v4
	scratch_load_b32 v27, off, off offset:4 th:TH_LOAD_LU ; 4-byte Folded Reload
	s_wait_loadcnt 0x1
	v_fmac_f16_e32 v22, v26, v4
	v_fma_f16 v3, v26, v14, -v3
	v_and_or_b32 v14, 0x1ff, v19, v18
	v_add_nc_u32_e32 v18, 0xfffffc10, v25
	v_lshrrev_b32_e32 v26, 16, v8
	v_cvt_f32_f16_e32 v20, v22
	v_or_b32_e32 v22, 0x1000, v7
	v_cvt_f32_f16_e32 v3, v3
	s_delay_alu instid0(VALU_DEP_3) | instskip(NEXT) | instid1(VALU_DEP_3)
	v_cvt_f64_f32_e32 v[20:21], v20
	v_lshrrev_b32_e32 v23, v9, v22
	s_delay_alu instid0(VALU_DEP_1) | instskip(SKIP_2) | instid1(VALU_DEP_3)
	v_lshlrev_b32_e32 v4, v9, v23
	v_lshrrev_b32_e32 v9, 16, v17
	v_lshrrev_b32_e32 v17, 8, v19
	v_cmp_ne_u32_e32 vcc_lo, v4, v22
	v_bfe_u32 v22, v19, 20, 11
	v_cvt_f64_f32_e32 v[3:4], v3
	v_and_or_b32 v5, 0x8000, v9, v5
	v_lshrrev_b32_e32 v19, 16, v19
	s_wait_alu 0xfffd
	v_cndmask_b32_e64 v16, 0, 1, vcc_lo
	v_cmp_ne_u32_e32 vcc_lo, 0, v14
	s_delay_alu instid0(VALU_DEP_2) | instskip(SKIP_4) | instid1(VALU_DEP_3)
	v_or_b32_e32 v9, v23, v16
	s_wait_alu 0xfffd
	v_cndmask_b32_e64 v14, 0, 1, vcc_lo
	v_lshl_or_b32 v16, v18, 12, v7
	v_cmp_gt_i32_e32 vcc_lo, 1, v18
	v_and_or_b32 v23, 0xffe, v17, v14
	v_sub_nc_u32_e32 v14, 0x3f1, v22
	v_and_b32_e32 v17, 0xffff, v15
	s_wait_alu 0xfffd
	v_cndmask_b32_e32 v9, v16, v9, vcc_lo
	v_add_co_u32 v12, vcc_lo, v12, s2
	v_med3_i32 v25, v14, 0, 13
	v_or_b32_e32 v24, 0x1000, v23
	s_wait_alu 0xfffd
	v_add_co_ci_u32_e32 v13, vcc_lo, s3, v13, vcc_lo
	v_add_co_u32 v16, vcc_lo, v12, s2
	v_mul_f64_e32 v[14:15], s[8:9], v[20:21]
	v_lshrrev_b32_e32 v21, v25, v24
	v_and_b32_e32 v20, 7, v9
	v_lshl_or_b32 v5, v5, 16, v17
	s_wait_alu 0xfffd
	v_add_co_ci_u32_e32 v17, vcc_lo, s3, v13, vcc_lo
	v_lshlrev_b32_e32 v25, v25, v21
	v_cmp_lt_i32_e32 vcc_lo, 5, v20
	v_cmp_eq_u32_e64 s0, 3, v20
	v_lshrrev_b32_e32 v9, 2, v9
	v_add_nc_u32_e32 v22, 0xfffffc10, v22
	v_cmp_ne_u32_e64 s1, v25, v24
	v_mul_f64_e32 v[3:4], s[8:9], v[3:4]
	s_or_b32 vcc_lo, s0, vcc_lo
	global_store_b32 v[12:13], v1, off
	global_store_b32 v[16:17], v5, off
	s_wait_alu 0xfffe
	v_add_co_ci_u32_e32 v9, vcc_lo, 0, v9, vcc_lo
	v_cndmask_b32_e64 v20, 0, 1, s1
	v_cmp_ne_u32_e32 vcc_lo, 0, v7
	s_delay_alu instid0(VALU_DEP_2) | instskip(SKIP_4) | instid1(VALU_DEP_2)
	v_or_b32_e32 v20, v21, v20
	v_lshl_or_b32 v21, v22, 12, v23
	s_wait_alu 0xfffd
	v_cndmask_b32_e64 v7, 0, 1, vcc_lo
	v_cmp_gt_i32_e32 vcc_lo, 1, v22
	v_lshl_or_b32 v7, v7, 9, 0x7c00
	s_wait_alu 0xfffd
	v_cndmask_b32_e32 v25, v21, v20, vcc_lo
	v_cmp_gt_i32_e32 vcc_lo, 31, v18
	s_wait_alu 0xfffd
	v_cndmask_b32_e32 v9, 0x7c00, v9, vcc_lo
	v_cmp_eq_u32_e32 vcc_lo, 0x40f, v18
	v_and_or_b32 v14, 0x1ff, v15, v14
	s_wait_alu 0xfffd
	s_delay_alu instid0(VALU_DEP_3) | instskip(NEXT) | instid1(VALU_DEP_2)
	v_cndmask_b32_e32 v7, v9, v7, vcc_lo
	v_cmp_ne_u32_e64 s0, 0, v14
	v_lshrrev_b32_e32 v9, 16, v10
	v_lshrrev_b32_e32 v14, 8, v15
	s_wait_alu 0xf1ff
	s_delay_alu instid0(VALU_DEP_3) | instskip(NEXT) | instid1(VALU_DEP_3)
	v_cndmask_b32_e64 v10, 0, 1, s0
	v_and_or_b32 v18, 0x8000, v9, v7
	v_lshrrev_b32_e32 v7, 2, v25
	v_and_or_b32 v3, 0x1ff, v4, v3
	s_delay_alu instid0(VALU_DEP_4) | instskip(NEXT) | instid1(VALU_DEP_4)
	v_and_or_b32 v14, 0xffe, v14, v10
	v_and_b32_e32 v18, 0xffff, v18
	s_wait_loadcnt 0x0
	v_mul_f16_e32 v24, v27, v26
	s_delay_alu instid0(VALU_DEP_1) | instskip(SKIP_2) | instid1(VALU_DEP_3)
	v_fmac_f16_e64 v24, v194, v8
	v_mul_f16_e32 v8, v27, v8
	v_lshrrev_b32_e32 v27, 8, v4
	v_cvt_f32_f16_e32 v24, v24
	s_delay_alu instid0(VALU_DEP_3) | instskip(NEXT) | instid1(VALU_DEP_2)
	v_fma_f16 v8, v194, v26, -v8
	v_cvt_f64_f32_e32 v[20:21], v24
	v_and_b32_e32 v24, 7, v25
	s_delay_alu instid0(VALU_DEP_1) | instskip(SKIP_2) | instid1(VALU_DEP_2)
	v_cmp_lt_i32_e32 vcc_lo, 5, v24
	v_cmp_eq_u32_e64 s0, 3, v24
	v_bfe_u32 v24, v15, 20, 11
	s_or_b32 vcc_lo, s0, vcc_lo
	s_delay_alu instid0(VALU_DEP_1)
	v_sub_nc_u32_e32 v9, 0x3f1, v24
	s_wait_alu 0xfffe
	v_add_co_ci_u32_e32 v7, vcc_lo, 0, v7, vcc_lo
	v_cmp_ne_u32_e32 vcc_lo, 0, v23
	v_or_b32_e32 v23, 0x1000, v14
	v_med3_i32 v9, v9, 0, 13
	s_wait_alu 0xfffd
	v_cndmask_b32_e64 v10, 0, 1, vcc_lo
	v_cmp_gt_i32_e32 vcc_lo, 31, v22
	s_delay_alu instid0(VALU_DEP_3) | instskip(NEXT) | instid1(VALU_DEP_3)
	v_lshrrev_b32_e32 v25, v9, v23
	v_lshl_or_b32 v10, v10, 9, 0x7c00
	s_wait_alu 0xfffd
	v_cndmask_b32_e32 v7, 0x7c00, v7, vcc_lo
	v_cmp_eq_u32_e32 vcc_lo, 0x40f, v22
	v_lshlrev_b32_e32 v26, v9, v25
	s_wait_alu 0xfffd
	s_delay_alu instid0(VALU_DEP_3) | instskip(SKIP_3) | instid1(VALU_DEP_3)
	v_cndmask_b32_e32 v22, v7, v10, vcc_lo
	v_cvt_f32_f16_e32 v7, v8
	v_cmp_ne_u32_e32 vcc_lo, 0, v3
	v_mul_f64_e32 v[9:10], s[8:9], v[20:21]
	v_cvt_f64_f32_e32 v[7:8], v7
	s_wait_alu 0xfffd
	v_cndmask_b32_e64 v3, 0, 1, vcc_lo
	v_bfe_u32 v20, v4, 20, 11
	v_cmp_ne_u32_e32 vcc_lo, v26, v23
	v_add_nc_u32_e32 v23, 0xfffffc10, v24
	v_and_or_b32 v19, 0x8000, v19, v22
	v_and_or_b32 v3, 0xffe, v27, v3
	v_sub_nc_u32_e32 v24, 0x3f1, v20
	s_wait_alu 0xfffd
	v_cndmask_b32_e64 v21, 0, 1, vcc_lo
	v_cmp_gt_i32_e32 vcc_lo, 1, v23
	v_lshl_or_b32 v5, v19, 16, v18
	v_or_b32_e32 v26, 0x1000, v3
	v_med3_i32 v24, v24, 0, 13
	v_or_b32_e32 v21, v25, v21
	v_lshl_or_b32 v25, v23, 12, v14
	v_lshrrev_b32_e32 v19, 16, v2
	v_cmp_eq_u32_e64 s1, 0x40f, v23
	v_lshrrev_b32_e32 v22, v24, v26
	v_lshrrev_b32_e32 v4, 16, v4
	s_wait_alu 0xfffd
	v_cndmask_b32_e32 v21, v25, v21, vcc_lo
	v_add_co_u32 v12, vcc_lo, v16, s2
	v_lshlrev_b32_e32 v18, v24, v22
	s_wait_alu 0xfffd
	v_add_co_ci_u32_e32 v13, vcc_lo, s3, v17, vcc_lo
	v_and_b32_e32 v1, 7, v21
	v_mul_f16_e64 v16, v196, v19
	v_cmp_ne_u32_e64 s0, v18, v26
	v_add_nc_u32_e32 v18, 0xfffffc10, v20
	global_store_b32 v[12:13], v5, off
	v_cmp_lt_i32_e32 vcc_lo, 5, v1
	v_fmac_f16_e64 v16, v191, v2
	s_wait_alu 0xf1ff
	v_cndmask_b32_e64 v17, 0, 1, s0
	v_cmp_eq_u32_e64 s0, 3, v1
	v_lshrrev_b32_e32 v1, 2, v21
	v_lshl_or_b32 v20, v18, 12, v3
	v_cvt_f32_f16_e32 v16, v16
	v_or_b32_e32 v17, v22, v17
	v_mul_f64_e32 v[7:8], s[8:9], v[7:8]
	s_or_b32 vcc_lo, s0, vcc_lo
	v_and_or_b32 v9, 0x1ff, v10, v9
	s_wait_alu 0xfffe
	v_add_co_ci_u32_e32 v1, vcc_lo, 0, v1, vcc_lo
	v_cmp_gt_i32_e32 vcc_lo, 1, v18
	v_lshrrev_b32_e32 v21, 8, v10
	v_bfe_u32 v22, v10, 20, 11
	v_mul_f16_e64 v2, v196, v2
	v_lshrrev_b32_e32 v10, 16, v10
	s_wait_alu 0xfffd
	v_cndmask_b32_e32 v20, v20, v17, vcc_lo
	v_cmp_ne_u32_e32 vcc_lo, 0, v9
	v_cvt_f64_f32_e32 v[16:17], v16
	s_delay_alu instid0(VALU_DEP_3)
	v_and_b32_e32 v24, 7, v20
	s_wait_alu 0xfffd
	v_cndmask_b32_e64 v9, 0, 1, vcc_lo
	v_cmp_ne_u32_e32 vcc_lo, 0, v14
	v_lshrrev_b32_e32 v20, 2, v20
	v_cmp_eq_u32_e64 s0, 3, v24
	s_delay_alu instid0(VALU_DEP_4)
	v_and_or_b32 v9, 0xffe, v21, v9
	v_sub_nc_u32_e32 v21, 0x3f1, v22
	s_wait_alu 0xfffd
	v_cndmask_b32_e64 v14, 0, 1, vcc_lo
	v_cmp_gt_i32_e32 vcc_lo, 31, v23
	v_or_b32_e32 v25, 0x1000, v9
	v_med3_i32 v21, v21, 0, 13
	s_delay_alu instid0(VALU_DEP_4) | instskip(SKIP_4) | instid1(VALU_DEP_3)
	v_lshl_or_b32 v14, v14, 9, 0x7c00
	s_wait_alu 0xfffd
	v_cndmask_b32_e32 v1, 0x7c00, v1, vcc_lo
	v_cmp_lt_i32_e32 vcc_lo, 5, v24
	v_lshrrev_b32_e32 v24, v21, v25
	v_cndmask_b32_e64 v23, v1, v14, s1
	s_or_b32 vcc_lo, s0, vcc_lo
	s_wait_alu 0xfffe
	v_add_co_ci_u32_e32 v1, vcc_lo, 0, v20, vcc_lo
	v_lshlrev_b32_e32 v14, v21, v24
	v_cmp_gt_i32_e32 vcc_lo, 31, v18
	v_bfe_u32 v26, v8, 20, 11
	v_lshrrev_b32_e32 v20, 16, v15
	s_wait_alu 0xfffd
	v_cndmask_b32_e32 v21, 0x7c00, v1, vcc_lo
	v_fma_f16 v1, v191, v19, -v2
	v_and_or_b32 v2, 0x1ff, v8, v7
	v_cmp_ne_u32_e32 vcc_lo, v14, v25
	v_add_nc_u32_e32 v19, 0xfffffc10, v22
	v_lshrrev_b32_e32 v25, 8, v8
	v_cvt_f32_f16_e32 v14, v1
	v_and_or_b32 v20, 0x8000, v20, v23
	s_wait_alu 0xfffd
	v_cndmask_b32_e64 v7, 0, 1, vcc_lo
	v_cmp_ne_u32_e32 vcc_lo, 0, v2
	v_mul_f64_e32 v[1:2], s[8:9], v[16:17]
	v_cvt_f64_f32_e32 v[14:15], v14
	v_sub_nc_u32_e32 v17, 0x3f1, v26
	v_or_b32_e32 v7, v24, v7
	s_wait_alu 0xfffd
	v_cndmask_b32_e64 v22, 0, 1, vcc_lo
	v_cmp_ne_u32_e32 vcc_lo, 0, v3
	v_med3_i32 v17, v17, 0, 13
	s_delay_alu instid0(VALU_DEP_3)
	v_and_or_b32 v16, 0xffe, v25, v22
	s_wait_alu 0xfffd
	v_cndmask_b32_e64 v3, 0, 1, vcc_lo
	v_lshl_or_b32 v22, v19, 12, v9
	v_cmp_gt_i32_e32 vcc_lo, 1, v19
	v_or_b32_e32 v24, 0x1000, v16
	s_delay_alu instid0(VALU_DEP_4)
	v_lshl_or_b32 v3, v3, 9, 0x7c00
	s_wait_alu 0xfffd
	v_cndmask_b32_e32 v7, v22, v7, vcc_lo
	v_cmp_eq_u32_e32 vcc_lo, 0x40f, v18
	v_lshrrev_b32_e32 v18, v17, v24
	s_wait_alu 0xfffd
	v_cndmask_b32_e32 v3, v21, v3, vcc_lo
	v_and_b32_e32 v21, 7, v7
	s_delay_alu instid0(VALU_DEP_2) | instskip(SKIP_1) | instid1(VALU_DEP_3)
	v_and_or_b32 v5, 0x8000, v4, v3
	v_lshlrev_b32_e32 v3, v17, v18
	v_cmp_lt_i32_e32 vcc_lo, 5, v21
	v_cmp_eq_u32_e64 s0, 3, v21
	v_lshrrev_b32_e32 v4, 2, v7
	v_and_b32_e32 v17, 0xffff, v20
	v_cmp_ne_u32_e64 s1, v3, v24
	v_add_nc_u32_e32 v7, 0xfffffc10, v26
	s_or_b32 vcc_lo, s0, vcc_lo
	s_wait_alu 0xfffe
	v_add_co_ci_u32_e32 v20, vcc_lo, 0, v4, vcc_lo
	v_cndmask_b32_e64 v3, 0, 1, s1
	v_cmp_ne_u32_e32 vcc_lo, 0, v9
	v_lshl_or_b32 v4, v7, 12, v16
	v_and_or_b32 v1, 0x1ff, v2, v1
	v_lshrrev_b32_e32 v22, 8, v2
	v_or_b32_e32 v3, v18, v3
	s_wait_alu 0xfffd
	v_cndmask_b32_e64 v9, 0, 1, vcc_lo
	v_cmp_gt_i32_e32 vcc_lo, 1, v7
	v_lshrrev_b32_e32 v18, 16, v11
	v_bfe_u32 v23, v2, 20, 11
	v_cmp_eq_u32_e64 s1, 0x40f, v19
	v_lshl_or_b32 v9, v9, 9, 0x7c00
	s_wait_alu 0xfffd
	v_cndmask_b32_e32 v21, v4, v3, vcc_lo
	v_mul_f64_e32 v[3:4], s[8:9], v[14:15]
	v_mul_f16_e64 v14, v193, v18
	v_cmp_gt_i32_e32 vcc_lo, 31, v19
	v_lshl_or_b32 v5, v5, 16, v17
	v_and_b32_e32 v15, 7, v21
	v_lshrrev_b32_e32 v19, 2, v21
	v_fmac_f16_e64 v14, v187, v11
	s_wait_alu 0xfffd
	v_cndmask_b32_e32 v20, 0x7c00, v20, vcc_lo
	v_cmp_ne_u32_e32 vcc_lo, 0, v1
	v_cmp_eq_u32_e64 s0, 3, v15
	v_mul_f16_e64 v11, v193, v11
	v_cvt_f32_f16_e32 v14, v14
	s_wait_alu 0xf1ff
	v_cndmask_b32_e64 v9, v20, v9, s1
	s_wait_alu 0xfffd
	v_cndmask_b32_e64 v1, 0, 1, vcc_lo
	v_cmp_lt_i32_e32 vcc_lo, 5, v15
	v_lshrrev_b32_e32 v2, 16, v2
	v_cvt_f64_f32_e32 v[14:15], v14
	v_and_or_b32 v24, 0x8000, v10, v9
	v_and_or_b32 v1, 0xffe, v22, v1
	v_sub_nc_u32_e32 v22, 0x3f1, v23
	s_or_b32 vcc_lo, s0, vcc_lo
	s_wait_alu 0xfffe
	v_add_co_ci_u32_e32 v19, vcc_lo, 0, v19, vcc_lo
	v_or_b32_e32 v20, 0x1000, v1
	v_med3_i32 v21, v22, 0, 13
	v_cmp_ne_u32_e32 vcc_lo, 0, v16
	v_and_b32_e32 v17, 0xffff, v24
	s_delay_alu instid0(VALU_DEP_3) | instskip(SKIP_3) | instid1(VALU_DEP_3)
	v_lshrrev_b32_e32 v22, v21, v20
	s_wait_alu 0xfffd
	v_cndmask_b32_e64 v16, 0, 1, vcc_lo
	v_cmp_gt_i32_e32 vcc_lo, 31, v7
	v_lshlrev_b32_e32 v9, v21, v22
	s_delay_alu instid0(VALU_DEP_3)
	v_lshl_or_b32 v16, v16, 9, 0x7c00
	s_wait_alu 0xfffd
	v_cndmask_b32_e32 v19, 0x7c00, v19, vcc_lo
	v_cmp_eq_u32_e32 vcc_lo, 0x40f, v7
	v_fma_f16 v7, v187, v18, -v11
	v_and_or_b32 v3, 0x1ff, v4, v3
	v_add_nc_u32_e32 v18, 0xfffffc10, v23
	v_lshrrev_b32_e32 v21, 16, v8
	s_wait_alu 0xfffd
	v_cndmask_b32_e32 v16, v19, v16, vcc_lo
	v_cmp_ne_u32_e32 vcc_lo, v9, v20
	v_cvt_f32_f16_e32 v7, v7
	v_lshrrev_b32_e32 v19, 8, v4
	v_bfe_u32 v20, v4, 20, 11
	v_and_or_b32 v16, 0x8000, v21, v16
	s_wait_alu 0xfffd
	v_cndmask_b32_e64 v11, 0, 1, vcc_lo
	v_cmp_ne_u32_e32 vcc_lo, 0, v3
	v_cvt_f64_f32_e32 v[9:10], v7
	v_lshrrev_b32_e32 v4, 16, v4
	v_lshl_or_b32 v17, v16, 16, v17
	v_or_b32_e32 v7, v22, v11
	s_wait_alu 0xfffd
	v_cndmask_b32_e64 v3, 0, 1, vcc_lo
	v_lshl_or_b32 v11, v18, 12, v1
	v_cmp_gt_i32_e32 vcc_lo, 1, v18
	s_delay_alu instid0(VALU_DEP_3)
	v_and_or_b32 v3, 0xffe, v19, v3
	v_sub_nc_u32_e32 v19, 0x3f1, v20
	s_wait_alu 0xfffd
	v_cndmask_b32_e32 v22, v11, v7, vcc_lo
	v_mul_f64_e32 v[7:8], s[8:9], v[14:15]
	v_add_co_u32 v11, vcc_lo, v12, s6
	v_or_b32_e32 v14, 0x1000, v3
	v_med3_i32 v15, v19, 0, 13
	v_and_b32_e32 v19, 7, v22
	s_wait_alu 0xfffd
	v_add_co_ci_u32_e32 v12, vcc_lo, s7, v13, vcc_lo
	v_add_nc_u32_e32 v20, 0xfffffc10, v20
	v_lshrrev_b32_e32 v21, v15, v14
	v_cmp_lt_i32_e32 vcc_lo, 5, v19
	v_cmp_eq_u32_e64 s0, 3, v19
	v_lshrrev_b32_e32 v19, 16, v0
	v_lshl_or_b32 v16, v20, 12, v3
	v_lshlrev_b32_e32 v13, v15, v21
	v_lshrrev_b32_e32 v15, 2, v22
	s_or_b32 vcc_lo, s0, vcc_lo
	s_delay_alu instid0(VALU_DEP_2) | instskip(SKIP_1) | instid1(VALU_DEP_2)
	v_cmp_ne_u32_e64 s1, v13, v14
	s_wait_alu 0xfffe
	v_add_co_ci_u32_e32 v15, vcc_lo, 0, v15, vcc_lo
	v_mul_f16_e64 v14, v189, v19
	v_cmp_ne_u32_e32 vcc_lo, 0, v1
	s_wait_alu 0xf1ff
	v_cndmask_b32_e64 v13, 0, 1, s1
	v_mul_f64_e32 v[9:10], s[8:9], v[9:10]
	v_fmac_f16_e64 v14, v181, v0
	s_wait_alu 0xfffd
	v_cndmask_b32_e64 v1, 0, 1, vcc_lo
	v_or_b32_e32 v13, v21, v13
	v_cmp_gt_i32_e32 vcc_lo, 1, v20
	s_delay_alu instid0(VALU_DEP_3) | instskip(SKIP_1) | instid1(VALU_DEP_3)
	v_lshl_or_b32 v1, v1, 9, 0x7c00
	s_wait_alu 0xfffd
	v_cndmask_b32_e32 v21, v16, v13, vcc_lo
	v_cvt_f32_f16_e32 v13, v14
	v_cmp_gt_i32_e32 vcc_lo, 31, v18
	v_and_or_b32 v7, 0x1ff, v8, v7
	s_delay_alu instid0(VALU_DEP_4) | instskip(NEXT) | instid1(VALU_DEP_4)
	v_and_b32_e32 v23, 7, v21
	v_cvt_f64_f32_e32 v[13:14], v13
	s_wait_alu 0xfffd
	v_cndmask_b32_e32 v22, 0x7c00, v15, vcc_lo
	v_add_co_u32 v15, vcc_lo, v11, s2
	s_wait_alu 0xfffd
	v_add_co_ci_u32_e32 v16, vcc_lo, s3, v12, vcc_lo
	v_cmp_eq_u32_e32 vcc_lo, 0x40f, v18
	v_cmp_ne_u32_e64 s0, 0, v7
	v_lshrrev_b32_e32 v21, 2, v21
	v_lshrrev_b32_e32 v18, 8, v8
	global_store_b32 v[11:12], v5, off
	global_store_b32 v[15:16], v17, off
	s_wait_alu 0xfffd
	v_cndmask_b32_e32 v1, v22, v1, vcc_lo
	v_cmp_lt_i32_e32 vcc_lo, 5, v23
	s_wait_alu 0xf1ff
	v_cndmask_b32_e64 v7, 0, 1, s0
	v_cmp_eq_u32_e64 s0, 3, v23
	v_bfe_u32 v22, v8, 20, 11
	v_and_or_b32 v24, 0x8000, v2, v1
	v_lshrrev_b32_e32 v8, 16, v8
	v_and_or_b32 v7, 0xffe, v18, v7
	s_or_b32 vcc_lo, s0, vcc_lo
	v_sub_nc_u32_e32 v18, 0x3f1, v22
	s_wait_alu 0xfffe
	v_add_co_ci_u32_e32 v21, vcc_lo, 0, v21, vcc_lo
	v_cmp_ne_u32_e32 vcc_lo, 0, v3
	v_or_b32_e32 v23, 0x1000, v7
	v_med3_i32 v18, v18, 0, 13
	v_and_or_b32 v1, 0x1ff, v10, v9
	v_bfe_u32 v25, v10, 20, 11
	s_wait_alu 0xfffd
	v_cndmask_b32_e64 v3, 0, 1, vcc_lo
	v_cmp_gt_i32_e32 vcc_lo, 31, v20
	v_lshrrev_b32_e32 v2, v18, v23
	s_delay_alu instid0(VALU_DEP_3) | instskip(SKIP_4) | instid1(VALU_DEP_2)
	v_lshl_or_b32 v3, v3, 9, 0x7c00
	s_wait_alu 0xfffd
	v_cndmask_b32_e32 v21, 0x7c00, v21, vcc_lo
	v_cmp_eq_u32_e32 vcc_lo, 0x40f, v20
	s_wait_alu 0xfffd
	v_cndmask_b32_e32 v9, v21, v3, vcc_lo
	v_lshlrev_b32_e32 v3, v18, v2
	v_cmp_ne_u32_e32 vcc_lo, 0, v1
	v_mul_f16_e64 v18, v189, v0
	v_lshrrev_b32_e32 v21, 8, v10
	v_mul_f64_e32 v[0:1], s[8:9], v[13:14]
	v_add_nc_u32_e32 v14, 0xfffffc10, v22
	s_wait_alu 0xfffd
	v_cndmask_b32_e64 v20, 0, 1, vcc_lo
	v_cmp_ne_u32_e32 vcc_lo, v3, v23
	v_fma_f16 v13, v181, v19, -v18
	v_sub_nc_u32_e32 v19, 0x3f1, v25
	v_and_or_b32 v4, 0x8000, v4, v9
	v_and_or_b32 v18, 0xffe, v21, v20
	s_wait_alu 0xfffd
	v_cndmask_b32_e64 v3, 0, 1, vcc_lo
	v_cvt_f32_f16_e32 v13, v13
	v_lshl_or_b32 v21, v14, 12, v7
	v_med3_i32 v19, v19, 0, 13
	v_or_b32_e32 v22, 0x1000, v18
	v_or_b32_e32 v20, v2, v3
	v_cmp_gt_i32_e32 vcc_lo, 1, v14
	v_cvt_f64_f32_e32 v[2:3], v13
	v_and_b32_e32 v9, 0xffff, v24
	v_cmp_eq_u32_e64 s1, 0x40f, v14
	v_lshrrev_b32_e32 v10, 16, v10
	s_wait_alu 0xfffd
	v_cndmask_b32_e32 v13, v21, v20, vcc_lo
	v_lshrrev_b32_e32 v20, v19, v22
	v_lshl_or_b32 v17, v4, 16, v9
	v_add_co_u32 v4, vcc_lo, v15, s2
	s_delay_alu instid0(VALU_DEP_4) | instskip(NEXT) | instid1(VALU_DEP_4)
	v_and_b32_e32 v9, 7, v13
	v_lshlrev_b32_e32 v11, v19, v20
	s_wait_alu 0xfffd
	v_add_co_ci_u32_e32 v5, vcc_lo, s3, v16, vcc_lo
	v_lshrrev_b32_e32 v15, 16, v6
	v_cmp_lt_i32_e32 vcc_lo, 5, v9
	v_cmp_ne_u32_e64 s0, v11, v22
	v_add_nc_u32_e32 v16, 0xfffffc10, v25
	s_delay_alu instid0(VALU_DEP_4) | instskip(SKIP_1) | instid1(VALU_DEP_3)
	v_mul_f16_e64 v12, v184, v15
	s_wait_alu 0xf1ff
	v_cndmask_b32_e64 v11, 0, 1, s0
	v_cmp_eq_u32_e64 s0, 3, v9
	v_lshrrev_b32_e32 v9, 2, v13
	v_lshl_or_b32 v13, v16, 12, v18
	v_and_or_b32 v0, 0x1ff, v1, v0
	v_or_b32_e32 v11, v20, v11
	s_or_b32 vcc_lo, s0, vcc_lo
	v_fmac_f16_e64 v12, v177, v6
	s_wait_alu 0xfffe
	v_add_co_ci_u32_e32 v9, vcc_lo, 0, v9, vcc_lo
	v_cmp_gt_i32_e32 vcc_lo, 1, v16
	v_lshrrev_b32_e32 v19, 8, v1
	v_cvt_f32_f16_e32 v12, v12
	v_bfe_u32 v20, v1, 20, 11
	s_wait_alu 0xfffd
	v_cndmask_b32_e32 v13, v13, v11, vcc_lo
	v_cmp_ne_u32_e32 vcc_lo, 0, v0
	v_cvt_f64_f32_e32 v[11:12], v12
	v_mul_f64_e32 v[2:3], s[8:9], v[2:3]
	s_delay_alu instid0(VALU_DEP_4)
	v_and_b32_e32 v21, 7, v13
	s_wait_alu 0xfffd
	v_cndmask_b32_e64 v0, 0, 1, vcc_lo
	v_cmp_ne_u32_e32 vcc_lo, 0, v7
	v_lshrrev_b32_e32 v13, 2, v13
	v_cmp_eq_u32_e64 s0, 3, v21
	s_delay_alu instid0(VALU_DEP_4)
	v_and_or_b32 v0, 0xffe, v19, v0
	s_wait_alu 0xfffd
	v_cndmask_b32_e64 v7, 0, 1, vcc_lo
	v_cmp_gt_i32_e32 vcc_lo, 31, v14
	v_sub_nc_u32_e32 v19, 0x3f1, v20
	v_or_b32_e32 v22, 0x1000, v0
	s_delay_alu instid0(VALU_DEP_4) | instskip(SKIP_4) | instid1(VALU_DEP_3)
	v_lshl_or_b32 v7, v7, 9, 0x7c00
	s_wait_alu 0xfffd
	v_cndmask_b32_e32 v9, 0x7c00, v9, vcc_lo
	v_cmp_lt_i32_e32 vcc_lo, 5, v21
	v_med3_i32 v19, v19, 0, 13
	v_cndmask_b32_e64 v7, v9, v7, s1
	s_or_b32 vcc_lo, s0, vcc_lo
	s_delay_alu instid0(VALU_DEP_2) | instskip(SKIP_3) | instid1(VALU_DEP_3)
	v_lshrrev_b32_e32 v9, v19, v22
	s_wait_alu 0xfffe
	v_add_co_ci_u32_e32 v13, vcc_lo, 0, v13, vcc_lo
	v_cmp_ne_u32_e32 vcc_lo, 0, v18
	v_lshlrev_b32_e32 v18, v19, v9
	v_and_or_b32 v19, 0x8000, v8, v7
	s_wait_alu 0xfffd
	v_cndmask_b32_e64 v14, 0, 1, vcc_lo
	v_cmp_gt_i32_e32 vcc_lo, 31, v16
	s_delay_alu instid0(VALU_DEP_3) | instskip(NEXT) | instid1(VALU_DEP_3)
	v_and_b32_e32 v19, 0xffff, v19
	v_lshl_or_b32 v14, v14, 9, 0x7c00
	s_wait_alu 0xfffd
	v_cndmask_b32_e32 v13, 0x7c00, v13, vcc_lo
	v_cmp_ne_u32_e32 vcc_lo, v18, v22
	v_and_or_b32 v2, 0x1ff, v3, v2
	s_wait_alu 0xfffd
	v_cndmask_b32_e64 v7, 0, 1, vcc_lo
	v_cmp_eq_u32_e32 vcc_lo, 0x40f, v16
	v_mul_f16_e64 v16, v184, v6
	s_delay_alu instid0(VALU_DEP_3)
	v_or_b32_e32 v9, v9, v7
	s_wait_alu 0xfffd
	v_cndmask_b32_e32 v8, v13, v14, vcc_lo
	v_add_nc_u32_e32 v14, 0xfffffc10, v20
	ds_load_b32 v13, v130 offset:2312
	v_mul_f64_e32 v[6:7], s[8:9], v[11:12]
	v_fma_f16 v12, v177, v15, -v16
	v_bfe_u32 v15, v3, 20, 11
	v_lshl_or_b32 v11, v14, 12, v0
	v_cmp_gt_i32_e32 vcc_lo, 1, v14
	v_and_or_b32 v10, 0x8000, v10, v8
	s_wait_alu 0xfffd
	s_delay_alu instid0(VALU_DEP_3) | instskip(SKIP_3) | instid1(VALU_DEP_4)
	v_cndmask_b32_e32 v11, v11, v9, vcc_lo
	v_cmp_ne_u32_e32 vcc_lo, 0, v2
	v_cvt_f32_f16_e32 v9, v12
	v_lshrrev_b32_e32 v12, 8, v3
	v_and_b32_e32 v16, 7, v11
	s_wait_alu 0xfffd
	v_cndmask_b32_e64 v2, 0, 1, vcc_lo
	v_cvt_f64_f32_e32 v[8:9], v9
	s_wait_dscnt 0x0
	v_lshrrev_b32_e32 v18, 16, v13
	s_delay_alu instid0(VALU_DEP_3)
	v_and_or_b32 v2, 0xffe, v12, v2
	v_sub_nc_u32_e32 v12, 0x3f1, v15
	v_cmp_lt_i32_e32 vcc_lo, 5, v16
	v_cmp_eq_u32_e64 s0, 3, v16
	v_lshl_or_b32 v16, v10, 16, v19
	v_lshrrev_b32_e32 v10, 2, v11
	v_or_b32_e32 v20, 0x1000, v2
	v_med3_i32 v12, v12, 0, 13
	v_mul_f16_e64 v21, v179, v18
	s_or_b32 vcc_lo, s0, vcc_lo
	v_add_nc_u32_e32 v15, 0xfffffc10, v15
	s_wait_alu 0xfffe
	v_add_co_ci_u32_e32 v10, vcc_lo, 0, v10, vcc_lo
	v_lshrrev_b32_e32 v19, v12, v20
	v_fmac_f16_e64 v21, v175, v13
	v_cmp_ne_u32_e32 vcc_lo, 0, v0
	v_mul_f16_e64 v13, v179, v13
	s_delay_alu instid0(VALU_DEP_4) | instskip(NEXT) | instid1(VALU_DEP_4)
	v_lshlrev_b32_e32 v12, v12, v19
	v_cvt_f32_f16_e32 v11, v21
	s_wait_alu 0xfffd
	v_cndmask_b32_e64 v0, 0, 1, vcc_lo
	v_cmp_gt_i32_e32 vcc_lo, 31, v14
	v_and_or_b32 v6, 0x1ff, v7, v6
	v_fma_f16 v13, v175, v18, -v13
	v_lshl_or_b32 v18, v15, 12, v2
	v_lshl_or_b32 v0, v0, 9, 0x7c00
	s_wait_alu 0xfffd
	v_cndmask_b32_e32 v21, 0x7c00, v10, vcc_lo
	v_cvt_f64_f32_e32 v[10:11], v11
	v_cmp_ne_u32_e32 vcc_lo, v12, v20
	v_lshrrev_b32_e32 v20, 8, v7
	v_cvt_f32_f16_e32 v13, v13
	s_wait_alu 0xfffd
	v_cndmask_b32_e64 v12, 0, 1, vcc_lo
	v_cmp_ne_u32_e32 vcc_lo, 0, v6
	v_mul_f64_e32 v[8:9], s[8:9], v[8:9]
	s_delay_alu instid0(VALU_DEP_3)
	v_or_b32_e32 v12, v19, v12
	s_wait_alu 0xfffd
	v_cndmask_b32_e64 v6, 0, 1, vcc_lo
	v_bfe_u32 v19, v7, 20, 11
	v_cmp_gt_i32_e32 vcc_lo, 1, v15
	v_lshrrev_b32_e32 v7, 16, v7
	s_delay_alu instid0(VALU_DEP_4) | instskip(NEXT) | instid1(VALU_DEP_4)
	v_and_or_b32 v6, 0xffe, v20, v6
	v_sub_nc_u32_e32 v20, 0x3f1, v19
	s_wait_alu 0xfffd
	v_cndmask_b32_e32 v18, v18, v12, vcc_lo
	v_cmp_eq_u32_e32 vcc_lo, 0x40f, v14
	v_cvt_f64_f32_e32 v[12:13], v13
	v_or_b32_e32 v22, 0x1000, v6
	v_med3_i32 v20, v20, 0, 13
	s_wait_alu 0xfffd
	v_dual_cndmask_b32 v14, v21, v0 :: v_dual_and_b32 v23, 7, v18
	v_add_co_u32 v0, vcc_lo, v4, s2
	s_delay_alu instid0(VALU_DEP_3)
	v_lshrrev_b32_e32 v24, v20, v22
	v_lshrrev_b32_e32 v21, 16, v1
	s_wait_alu 0xfffd
	v_add_co_ci_u32_e32 v1, vcc_lo, s3, v5, vcc_lo
	v_cmp_lt_i32_e32 vcc_lo, 5, v23
	v_cmp_eq_u32_e64 s0, 3, v23
	v_lshrrev_b32_e32 v18, 2, v18
	v_lshlrev_b32_e32 v20, v20, v24
	v_add_nc_u32_e32 v19, 0xfffffc10, v19
	v_and_or_b32 v14, 0x8000, v21, v14
	s_or_b32 vcc_lo, s0, vcc_lo
	v_mul_f64_e32 v[10:11], s[8:9], v[10:11]
	s_wait_alu 0xfffe
	v_add_co_ci_u32_e32 v18, vcc_lo, 0, v18, vcc_lo
	v_cmp_ne_u32_e64 s1, v20, v22
	v_cmp_ne_u32_e32 vcc_lo, 0, v2
	v_lshl_or_b32 v21, v19, 12, v6
	v_and_b32_e32 v14, 0xffff, v14
	v_and_or_b32 v8, 0x1ff, v9, v8
	s_wait_alu 0xf1ff
	v_cndmask_b32_e64 v20, 0, 1, s1
	s_wait_alu 0xfffd
	v_cndmask_b32_e64 v2, 0, 1, vcc_lo
	v_cmp_gt_i32_e32 vcc_lo, 31, v15
	v_lshrrev_b32_e32 v22, 8, v9
	v_or_b32_e32 v20, v24, v20
	s_delay_alu instid0(VALU_DEP_4)
	v_lshl_or_b32 v2, v2, 9, 0x7c00
	s_wait_alu 0xfffd
	v_cndmask_b32_e32 v18, 0x7c00, v18, vcc_lo
	v_cmp_gt_i32_e32 vcc_lo, 1, v19
	s_wait_alu 0xfffd
	v_cndmask_b32_e32 v20, v21, v20, vcc_lo
	v_cmp_eq_u32_e32 vcc_lo, 0x40f, v15
	s_delay_alu instid0(VALU_DEP_2)
	v_and_b32_e32 v21, 7, v20
	s_wait_alu 0xfffd
	v_cndmask_b32_e32 v15, v18, v2, vcc_lo
	v_lshrrev_b32_e32 v18, 16, v3
	v_cmp_ne_u32_e32 vcc_lo, 0, v8
	v_mul_f64_e32 v[2:3], s[8:9], v[12:13]
	v_bfe_u32 v12, v9, 20, 11
	v_cmp_eq_u32_e64 s0, 3, v21
	v_and_or_b32 v13, 0x8000, v18, v15
	s_wait_alu 0xfffd
	v_cndmask_b32_e64 v8, 0, 1, vcc_lo
	v_cmp_lt_i32_e32 vcc_lo, 5, v21
	v_sub_nc_u32_e32 v15, 0x3f1, v12
	v_add_nc_u32_e32 v12, 0xfffffc10, v12
	v_lshl_or_b32 v13, v13, 16, v14
	v_lshrrev_b32_e32 v14, 2, v20
	v_and_or_b32 v8, 0xffe, v22, v8
	s_or_b32 vcc_lo, s0, vcc_lo
	v_med3_i32 v15, v15, 0, 13
	v_and_or_b32 v10, 0x1ff, v11, v10
	s_wait_alu 0xfffe
	v_add_co_ci_u32_e32 v14, vcc_lo, 0, v14, vcc_lo
	v_or_b32_e32 v18, 0x1000, v8
	v_cmp_ne_u32_e32 vcc_lo, 0, v6
	v_lshrrev_b32_e32 v21, 8, v11
	v_bfe_u32 v22, v11, 20, 11
	v_lshrrev_b32_e32 v9, 16, v9
	v_lshrrev_b32_e32 v20, v15, v18
	s_wait_alu 0xfffd
	v_cndmask_b32_e64 v6, 0, 1, vcc_lo
	v_cmp_gt_i32_e32 vcc_lo, 31, v19
	v_lshrrev_b32_e32 v11, 16, v11
	v_lshlrev_b32_e32 v15, v15, v20
	s_delay_alu instid0(VALU_DEP_4)
	v_lshl_or_b32 v6, v6, 9, 0x7c00
	s_wait_alu 0xfffd
	v_cndmask_b32_e32 v14, 0x7c00, v14, vcc_lo
	v_cmp_ne_u32_e32 vcc_lo, 0, v10
	s_wait_alu 0xfffd
	v_cndmask_b32_e64 v10, 0, 1, vcc_lo
	v_cmp_ne_u32_e32 vcc_lo, v15, v18
	v_sub_nc_u32_e32 v18, 0x3f1, v22
	v_and_or_b32 v2, 0x1ff, v3, v2
	s_delay_alu instid0(VALU_DEP_4)
	v_and_or_b32 v10, 0xffe, v21, v10
	s_wait_alu 0xfffd
	v_cndmask_b32_e64 v15, 0, 1, vcc_lo
	v_cmp_eq_u32_e32 vcc_lo, 0x40f, v19
	v_med3_i32 v18, v18, 0, 13
	v_bfe_u32 v21, v3, 20, 11
	v_or_b32_e32 v19, 0x1000, v10
	s_wait_alu 0xfffd
	v_cndmask_b32_e32 v6, v14, v6, vcc_lo
	v_or_b32_e32 v14, v20, v15
	v_lshl_or_b32 v15, v12, 12, v8
	v_cmp_gt_i32_e32 vcc_lo, 1, v12
	v_lshrrev_b32_e32 v20, 8, v3
	v_and_or_b32 v6, 0x8000, v7, v6
	v_sub_nc_u32_e32 v7, 0x3f1, v21
	s_wait_alu 0xfffd
	v_cndmask_b32_e32 v14, v15, v14, vcc_lo
	v_lshrrev_b32_e32 v15, v18, v19
	v_cmp_ne_u32_e32 vcc_lo, 0, v2
	v_med3_i32 v7, v7, 0, 13
	v_and_b32_e32 v6, 0xffff, v6
	v_and_b32_e32 v23, 7, v14
	v_lshlrev_b32_e32 v18, v18, v15
	s_wait_alu 0xfffd
	v_cndmask_b32_e64 v2, 0, 1, vcc_lo
	v_lshrrev_b32_e32 v14, 2, v14
	v_cmp_lt_i32_e32 vcc_lo, 5, v23
	v_cmp_ne_u32_e64 s0, v18, v19
	s_delay_alu instid0(VALU_DEP_4) | instskip(SKIP_2) | instid1(VALU_DEP_3)
	v_and_or_b32 v2, 0xffe, v20, v2
	v_add_nc_u32_e32 v20, 0xfffffc10, v22
	s_wait_alu 0xf1ff
	v_cndmask_b32_e64 v18, 0, 1, s0
	v_cmp_eq_u32_e64 s0, 3, v23
	v_or_b32_e32 v19, 0x1000, v2
	v_lshl_or_b32 v22, v20, 12, v10
	s_delay_alu instid0(VALU_DEP_4) | instskip(NEXT) | instid1(VALU_DEP_4)
	v_or_b32_e32 v15, v15, v18
	s_or_b32 vcc_lo, s0, vcc_lo
	s_delay_alu instid0(VALU_DEP_3) | instskip(SKIP_3) | instid1(VALU_DEP_3)
	v_lshrrev_b32_e32 v18, v7, v19
	s_wait_alu 0xfffe
	v_add_co_ci_u32_e32 v14, vcc_lo, 0, v14, vcc_lo
	v_cmp_gt_i32_e32 vcc_lo, 1, v20
	v_lshlrev_b32_e32 v7, v7, v18
	s_wait_alu 0xfffd
	v_cndmask_b32_e32 v15, v22, v15, vcc_lo
	v_cmp_ne_u32_e32 vcc_lo, 0, v8
	s_wait_alu 0xfffd
	v_cndmask_b32_e64 v8, 0, 1, vcc_lo
	v_cmp_ne_u32_e32 vcc_lo, v7, v19
	v_add_nc_u32_e32 v19, 0xfffffc10, v21
	v_and_b32_e32 v21, 7, v15
	s_delay_alu instid0(VALU_DEP_4)
	v_lshl_or_b32 v8, v8, 9, 0x7c00
	s_wait_alu 0xfffd
	v_cndmask_b32_e64 v7, 0, 1, vcc_lo
	v_cmp_gt_i32_e32 vcc_lo, 31, v12
	v_cmp_gt_i32_e64 s1, 1, v19
	v_cmp_eq_u32_e64 s0, 3, v21
	s_delay_alu instid0(VALU_DEP_4)
	v_or_b32_e32 v7, v18, v7
	v_lshl_or_b32 v18, v19, 12, v2
	s_wait_alu 0xfffd
	v_cndmask_b32_e32 v14, 0x7c00, v14, vcc_lo
	v_cmp_lt_i32_e32 vcc_lo, 5, v21
	s_wait_alu 0xf1ff
	v_cndmask_b32_e64 v7, v18, v7, s1
	v_cmp_eq_u32_e64 s1, 0x40f, v12
	v_lshrrev_b32_e32 v12, 2, v15
	s_or_b32 vcc_lo, s0, vcc_lo
	s_delay_alu instid0(VALU_DEP_2) | instskip(SKIP_1) | instid1(VALU_DEP_2)
	v_cndmask_b32_e64 v8, v14, v8, s1
	s_wait_alu 0xfffe
	v_add_co_ci_u32_e32 v12, vcc_lo, 0, v12, vcc_lo
	v_and_b32_e32 v14, 7, v7
	v_cmp_ne_u32_e32 vcc_lo, 0, v10
	v_lshrrev_b32_e32 v7, 2, v7
	v_cmp_gt_i32_e64 s1, 31, v20
	v_and_or_b32 v8, 0x8000, v9, v8
	v_cmp_eq_u32_e64 s0, 3, v14
	s_wait_alu 0xfffd
	v_cndmask_b32_e64 v10, 0, 1, vcc_lo
	v_cmp_lt_i32_e32 vcc_lo, 5, v14
	s_wait_alu 0xf1ff
	v_cndmask_b32_e64 v12, 0x7c00, v12, s1
	s_delay_alu instid0(VALU_DEP_3)
	v_lshl_or_b32 v10, v10, 9, 0x7c00
	s_or_b32 vcc_lo, s0, vcc_lo
	s_wait_alu 0xfffe
	v_add_co_ci_u32_e32 v7, vcc_lo, 0, v7, vcc_lo
	v_cmp_ne_u32_e32 vcc_lo, 0, v2
	s_wait_alu 0xfffd
	v_cndmask_b32_e64 v2, 0, 1, vcc_lo
	v_cmp_eq_u32_e32 vcc_lo, 0x40f, v20
	s_delay_alu instid0(VALU_DEP_2) | instskip(SKIP_3) | instid1(VALU_DEP_2)
	v_lshl_or_b32 v2, v2, 9, 0x7c00
	s_wait_alu 0xfffd
	v_cndmask_b32_e32 v10, v12, v10, vcc_lo
	v_cmp_gt_i32_e32 vcc_lo, 31, v19
	v_and_or_b32 v9, 0x8000, v11, v10
	s_wait_alu 0xfffd
	v_cndmask_b32_e32 v7, 0x7c00, v7, vcc_lo
	v_cmp_eq_u32_e32 vcc_lo, 0x40f, v19
	v_lshrrev_b32_e32 v10, 16, v3
	v_lshl_or_b32 v11, v8, 16, v6
	v_and_b32_e32 v9, 0xffff, v9
	s_wait_alu 0xfffd
	v_cndmask_b32_e32 v7, v7, v2, vcc_lo
	v_add_co_u32 v2, vcc_lo, v0, s2
	s_wait_alu 0xfffd
	v_add_co_ci_u32_e32 v3, vcc_lo, s3, v1, vcc_lo
	s_delay_alu instid0(VALU_DEP_3) | instskip(NEXT) | instid1(VALU_DEP_3)
	v_and_or_b32 v8, 0x8000, v10, v7
	v_add_co_u32 v6, vcc_lo, v2, s2
	s_wait_alu 0xfffd
	s_delay_alu instid0(VALU_DEP_3) | instskip(NEXT) | instid1(VALU_DEP_3)
	v_add_co_ci_u32_e32 v7, vcc_lo, s3, v3, vcc_lo
	v_lshl_or_b32 v10, v8, 16, v9
	s_delay_alu instid0(VALU_DEP_3) | instskip(SKIP_1) | instid1(VALU_DEP_3)
	v_add_co_u32 v8, vcc_lo, v6, s2
	s_wait_alu 0xfffd
	v_add_co_ci_u32_e32 v9, vcc_lo, s3, v7, vcc_lo
	global_store_b32 v[4:5], v17, off
	global_store_b32 v[0:1], v16, off
	;; [unrolled: 1-line block ×5, first 2 shown]
.LBB0_10:
	s_nop 0
	s_sendmsg sendmsg(MSG_DEALLOC_VGPRS)
	s_endpgm
	.section	.rodata,"a",@progbits
	.p2align	6, 0x0
	.amdhsa_kernel bluestein_single_fwd_len595_dim1_half_op_CI_CI
		.amdhsa_group_segment_fixed_size 7140
		.amdhsa_private_segment_fixed_size 288
		.amdhsa_kernarg_size 104
		.amdhsa_user_sgpr_count 2
		.amdhsa_user_sgpr_dispatch_ptr 0
		.amdhsa_user_sgpr_queue_ptr 0
		.amdhsa_user_sgpr_kernarg_segment_ptr 1
		.amdhsa_user_sgpr_dispatch_id 0
		.amdhsa_user_sgpr_private_segment_size 0
		.amdhsa_wavefront_size32 1
		.amdhsa_uses_dynamic_stack 0
		.amdhsa_enable_private_segment 1
		.amdhsa_system_sgpr_workgroup_id_x 1
		.amdhsa_system_sgpr_workgroup_id_y 0
		.amdhsa_system_sgpr_workgroup_id_z 0
		.amdhsa_system_sgpr_workgroup_info 0
		.amdhsa_system_vgpr_workitem_id 0
		.amdhsa_next_free_vgpr 256
		.amdhsa_next_free_sgpr 20
		.amdhsa_reserve_vcc 1
		.amdhsa_float_round_mode_32 0
		.amdhsa_float_round_mode_16_64 0
		.amdhsa_float_denorm_mode_32 3
		.amdhsa_float_denorm_mode_16_64 3
		.amdhsa_fp16_overflow 0
		.amdhsa_workgroup_processor_mode 1
		.amdhsa_memory_ordered 1
		.amdhsa_forward_progress 0
		.amdhsa_round_robin_scheduling 0
		.amdhsa_exception_fp_ieee_invalid_op 0
		.amdhsa_exception_fp_denorm_src 0
		.amdhsa_exception_fp_ieee_div_zero 0
		.amdhsa_exception_fp_ieee_overflow 0
		.amdhsa_exception_fp_ieee_underflow 0
		.amdhsa_exception_fp_ieee_inexact 0
		.amdhsa_exception_int_div_zero 0
	.end_amdhsa_kernel
	.text
.Lfunc_end0:
	.size	bluestein_single_fwd_len595_dim1_half_op_CI_CI, .Lfunc_end0-bluestein_single_fwd_len595_dim1_half_op_CI_CI
                                        ; -- End function
	.section	.AMDGPU.csdata,"",@progbits
; Kernel info:
; codeLenInByte = 92700
; NumSgprs: 22
; NumVgprs: 256
; ScratchSize: 288
; MemoryBound: 0
; FloatMode: 240
; IeeeMode: 1
; LDSByteSize: 7140 bytes/workgroup (compile time only)
; SGPRBlocks: 2
; VGPRBlocks: 31
; NumSGPRsForWavesPerEU: 22
; NumVGPRsForWavesPerEU: 256
; Occupancy: 5
; WaveLimiterHint : 1
; COMPUTE_PGM_RSRC2:SCRATCH_EN: 1
; COMPUTE_PGM_RSRC2:USER_SGPR: 2
; COMPUTE_PGM_RSRC2:TRAP_HANDLER: 0
; COMPUTE_PGM_RSRC2:TGID_X_EN: 1
; COMPUTE_PGM_RSRC2:TGID_Y_EN: 0
; COMPUTE_PGM_RSRC2:TGID_Z_EN: 0
; COMPUTE_PGM_RSRC2:TIDIG_COMP_CNT: 0
	.text
	.p2alignl 7, 3214868480
	.fill 96, 4, 3214868480
	.type	__hip_cuid_2cefbaac9e895e89,@object ; @__hip_cuid_2cefbaac9e895e89
	.section	.bss,"aw",@nobits
	.globl	__hip_cuid_2cefbaac9e895e89
__hip_cuid_2cefbaac9e895e89:
	.byte	0                               ; 0x0
	.size	__hip_cuid_2cefbaac9e895e89, 1

	.ident	"AMD clang version 19.0.0git (https://github.com/RadeonOpenCompute/llvm-project roc-6.4.0 25133 c7fe45cf4b819c5991fe208aaa96edf142730f1d)"
	.section	".note.GNU-stack","",@progbits
	.addrsig
	.addrsig_sym __hip_cuid_2cefbaac9e895e89
	.amdgpu_metadata
---
amdhsa.kernels:
  - .args:
      - .actual_access:  read_only
        .address_space:  global
        .offset:         0
        .size:           8
        .value_kind:     global_buffer
      - .actual_access:  read_only
        .address_space:  global
        .offset:         8
        .size:           8
        .value_kind:     global_buffer
      - .actual_access:  read_only
        .address_space:  global
        .offset:         16
        .size:           8
        .value_kind:     global_buffer
      - .actual_access:  read_only
        .address_space:  global
        .offset:         24
        .size:           8
        .value_kind:     global_buffer
      - .actual_access:  read_only
        .address_space:  global
        .offset:         32
        .size:           8
        .value_kind:     global_buffer
      - .offset:         40
        .size:           8
        .value_kind:     by_value
      - .address_space:  global
        .offset:         48
        .size:           8
        .value_kind:     global_buffer
      - .address_space:  global
        .offset:         56
        .size:           8
        .value_kind:     global_buffer
      - .address_space:  global
        .offset:         64
        .size:           8
        .value_kind:     global_buffer
      - .address_space:  global
        .offset:         72
        .size:           8
        .value_kind:     global_buffer
      - .offset:         80
        .size:           4
        .value_kind:     by_value
      - .address_space:  global
        .offset:         88
        .size:           8
        .value_kind:     global_buffer
      - .address_space:  global
        .offset:         96
        .size:           8
        .value_kind:     global_buffer
    .group_segment_fixed_size: 7140
    .kernarg_segment_align: 8
    .kernarg_segment_size: 104
    .language:       OpenCL C
    .language_version:
      - 2
      - 0
    .max_flat_workgroup_size: 51
    .name:           bluestein_single_fwd_len595_dim1_half_op_CI_CI
    .private_segment_fixed_size: 288
    .sgpr_count:     22
    .sgpr_spill_count: 0
    .symbol:         bluestein_single_fwd_len595_dim1_half_op_CI_CI.kd
    .uniform_work_group_size: 1
    .uses_dynamic_stack: false
    .vgpr_count:     256
    .vgpr_spill_count: 75
    .wavefront_size: 32
    .workgroup_processor_mode: 1
amdhsa.target:   amdgcn-amd-amdhsa--gfx1201
amdhsa.version:
  - 1
  - 2
...

	.end_amdgpu_metadata
